;; amdgpu-corpus repo=ROCm/rocFFT kind=compiled arch=gfx906 opt=O3
	.text
	.amdgcn_target "amdgcn-amd-amdhsa--gfx906"
	.amdhsa_code_object_version 6
	.protected	fft_rtc_back_len3456_factors_6_6_6_4_4_wgs_144_tpt_144_halfLds_sp_op_CI_CI_sbrr_dirReg ; -- Begin function fft_rtc_back_len3456_factors_6_6_6_4_4_wgs_144_tpt_144_halfLds_sp_op_CI_CI_sbrr_dirReg
	.globl	fft_rtc_back_len3456_factors_6_6_6_4_4_wgs_144_tpt_144_halfLds_sp_op_CI_CI_sbrr_dirReg
	.p2align	8
	.type	fft_rtc_back_len3456_factors_6_6_6_4_4_wgs_144_tpt_144_halfLds_sp_op_CI_CI_sbrr_dirReg,@function
fft_rtc_back_len3456_factors_6_6_6_4_4_wgs_144_tpt_144_halfLds_sp_op_CI_CI_sbrr_dirReg: ; @fft_rtc_back_len3456_factors_6_6_6_4_4_wgs_144_tpt_144_halfLds_sp_op_CI_CI_sbrr_dirReg
; %bb.0:
	s_load_dwordx4 s[16:19], s[4:5], 0x18
	s_load_dwordx4 s[12:15], s[4:5], 0x0
	;; [unrolled: 1-line block ×3, first 2 shown]
	v_mul_u32_u24_e32 v1, 0x1c8, v0
	v_mov_b32_e32 v5, 0
	s_waitcnt lgkmcnt(0)
	s_load_dwordx2 s[20:21], s[16:17], 0x0
	s_load_dwordx2 s[2:3], s[18:19], 0x0
	v_cmp_lt_u64_e64 s[0:1], s[14:15], 2
	v_mov_b32_e32 v13, 0
	v_add_u32_sdwa v7, s6, v1 dst_sel:DWORD dst_unused:UNUSED_PAD src0_sel:DWORD src1_sel:WORD_1
	v_mov_b32_e32 v8, v5
	s_and_b64 vcc, exec, s[0:1]
	v_mov_b32_e32 v14, 0
	s_cbranch_vccnz .LBB0_8
; %bb.1:
	s_load_dwordx2 s[0:1], s[4:5], 0x10
	s_add_u32 s6, s18, 8
	s_addc_u32 s7, s19, 0
	s_add_u32 s22, s16, 8
	s_addc_u32 s23, s17, 0
	v_mov_b32_e32 v13, 0
	s_waitcnt lgkmcnt(0)
	s_add_u32 s24, s0, 8
	v_mov_b32_e32 v14, 0
	v_mov_b32_e32 v1, v13
	s_addc_u32 s25, s1, 0
	s_mov_b64 s[26:27], 1
	v_mov_b32_e32 v2, v14
.LBB0_2:                                ; =>This Inner Loop Header: Depth=1
	s_load_dwordx2 s[28:29], s[24:25], 0x0
                                        ; implicit-def: $vgpr3_vgpr4
	s_waitcnt lgkmcnt(0)
	v_or_b32_e32 v6, s29, v8
	v_cmp_ne_u64_e32 vcc, 0, v[5:6]
	s_and_saveexec_b64 s[0:1], vcc
	s_xor_b64 s[30:31], exec, s[0:1]
	s_cbranch_execz .LBB0_4
; %bb.3:                                ;   in Loop: Header=BB0_2 Depth=1
	v_cvt_f32_u32_e32 v3, s28
	v_cvt_f32_u32_e32 v4, s29
	s_sub_u32 s0, 0, s28
	s_subb_u32 s1, 0, s29
	v_mac_f32_e32 v3, 0x4f800000, v4
	v_rcp_f32_e32 v3, v3
	v_mul_f32_e32 v3, 0x5f7ffffc, v3
	v_mul_f32_e32 v4, 0x2f800000, v3
	v_trunc_f32_e32 v4, v4
	v_mac_f32_e32 v3, 0xcf800000, v4
	v_cvt_u32_f32_e32 v4, v4
	v_cvt_u32_f32_e32 v3, v3
	v_mul_lo_u32 v6, s0, v4
	v_mul_hi_u32 v9, s0, v3
	v_mul_lo_u32 v11, s1, v3
	v_mul_lo_u32 v10, s0, v3
	v_add_u32_e32 v6, v9, v6
	v_add_u32_e32 v6, v6, v11
	v_mul_hi_u32 v9, v3, v10
	v_mul_lo_u32 v11, v3, v6
	v_mul_hi_u32 v15, v3, v6
	v_mul_hi_u32 v12, v4, v10
	v_mul_lo_u32 v10, v4, v10
	v_mul_hi_u32 v16, v4, v6
	v_add_co_u32_e32 v9, vcc, v9, v11
	v_addc_co_u32_e32 v11, vcc, 0, v15, vcc
	v_mul_lo_u32 v6, v4, v6
	v_add_co_u32_e32 v9, vcc, v9, v10
	v_addc_co_u32_e32 v9, vcc, v11, v12, vcc
	v_addc_co_u32_e32 v10, vcc, 0, v16, vcc
	v_add_co_u32_e32 v6, vcc, v9, v6
	v_addc_co_u32_e32 v9, vcc, 0, v10, vcc
	v_add_co_u32_e32 v3, vcc, v3, v6
	v_addc_co_u32_e32 v4, vcc, v4, v9, vcc
	v_mul_lo_u32 v6, s0, v4
	v_mul_hi_u32 v9, s0, v3
	v_mul_lo_u32 v10, s1, v3
	v_mul_lo_u32 v11, s0, v3
	v_add_u32_e32 v6, v9, v6
	v_add_u32_e32 v6, v6, v10
	v_mul_lo_u32 v12, v3, v6
	v_mul_hi_u32 v15, v3, v11
	v_mul_hi_u32 v16, v3, v6
	;; [unrolled: 1-line block ×3, first 2 shown]
	v_mul_lo_u32 v11, v4, v11
	v_mul_hi_u32 v9, v4, v6
	v_add_co_u32_e32 v12, vcc, v15, v12
	v_addc_co_u32_e32 v15, vcc, 0, v16, vcc
	v_mul_lo_u32 v6, v4, v6
	v_add_co_u32_e32 v11, vcc, v12, v11
	v_addc_co_u32_e32 v10, vcc, v15, v10, vcc
	v_addc_co_u32_e32 v9, vcc, 0, v9, vcc
	v_add_co_u32_e32 v6, vcc, v10, v6
	v_addc_co_u32_e32 v9, vcc, 0, v9, vcc
	v_add_co_u32_e32 v6, vcc, v3, v6
	v_addc_co_u32_e32 v9, vcc, v4, v9, vcc
	v_mad_u64_u32 v[3:4], s[0:1], v7, v9, 0
	v_mul_hi_u32 v10, v7, v6
	v_add_co_u32_e32 v11, vcc, v10, v3
	v_addc_co_u32_e32 v12, vcc, 0, v4, vcc
	v_mad_u64_u32 v[3:4], s[0:1], v8, v6, 0
	v_mad_u64_u32 v[9:10], s[0:1], v8, v9, 0
	v_add_co_u32_e32 v3, vcc, v11, v3
	v_addc_co_u32_e32 v3, vcc, v12, v4, vcc
	v_addc_co_u32_e32 v4, vcc, 0, v10, vcc
	v_add_co_u32_e32 v6, vcc, v3, v9
	v_addc_co_u32_e32 v9, vcc, 0, v4, vcc
	v_mul_lo_u32 v10, s29, v6
	v_mul_lo_u32 v11, s28, v9
	v_mad_u64_u32 v[3:4], s[0:1], s28, v6, 0
	v_add3_u32 v4, v4, v11, v10
	v_sub_u32_e32 v10, v8, v4
	v_mov_b32_e32 v11, s29
	v_sub_co_u32_e32 v3, vcc, v7, v3
	v_subb_co_u32_e64 v10, s[0:1], v10, v11, vcc
	v_subrev_co_u32_e64 v11, s[0:1], s28, v3
	v_subbrev_co_u32_e64 v10, s[0:1], 0, v10, s[0:1]
	v_cmp_le_u32_e64 s[0:1], s29, v10
	v_cndmask_b32_e64 v12, 0, -1, s[0:1]
	v_cmp_le_u32_e64 s[0:1], s28, v11
	v_cndmask_b32_e64 v11, 0, -1, s[0:1]
	v_cmp_eq_u32_e64 s[0:1], s29, v10
	v_cndmask_b32_e64 v10, v12, v11, s[0:1]
	v_add_co_u32_e64 v11, s[0:1], 2, v6
	v_addc_co_u32_e64 v12, s[0:1], 0, v9, s[0:1]
	v_add_co_u32_e64 v15, s[0:1], 1, v6
	v_addc_co_u32_e64 v16, s[0:1], 0, v9, s[0:1]
	v_subb_co_u32_e32 v4, vcc, v8, v4, vcc
	v_cmp_ne_u32_e64 s[0:1], 0, v10
	v_cmp_le_u32_e32 vcc, s29, v4
	v_cndmask_b32_e64 v10, v16, v12, s[0:1]
	v_cndmask_b32_e64 v12, 0, -1, vcc
	v_cmp_le_u32_e32 vcc, s28, v3
	v_cndmask_b32_e64 v3, 0, -1, vcc
	v_cmp_eq_u32_e32 vcc, s29, v4
	v_cndmask_b32_e32 v3, v12, v3, vcc
	v_cmp_ne_u32_e32 vcc, 0, v3
	v_cndmask_b32_e64 v3, v15, v11, s[0:1]
	v_cndmask_b32_e32 v4, v9, v10, vcc
	v_cndmask_b32_e32 v3, v6, v3, vcc
.LBB0_4:                                ;   in Loop: Header=BB0_2 Depth=1
	s_andn2_saveexec_b64 s[0:1], s[30:31]
	s_cbranch_execz .LBB0_6
; %bb.5:                                ;   in Loop: Header=BB0_2 Depth=1
	v_cvt_f32_u32_e32 v3, s28
	s_sub_i32 s30, 0, s28
	v_rcp_iflag_f32_e32 v3, v3
	v_mul_f32_e32 v3, 0x4f7ffffe, v3
	v_cvt_u32_f32_e32 v3, v3
	v_mul_lo_u32 v4, s30, v3
	v_mul_hi_u32 v4, v3, v4
	v_add_u32_e32 v3, v3, v4
	v_mul_hi_u32 v3, v7, v3
	v_mul_lo_u32 v4, v3, s28
	v_add_u32_e32 v6, 1, v3
	v_sub_u32_e32 v4, v7, v4
	v_subrev_u32_e32 v9, s28, v4
	v_cmp_le_u32_e32 vcc, s28, v4
	v_cndmask_b32_e32 v4, v4, v9, vcc
	v_cndmask_b32_e32 v3, v3, v6, vcc
	v_add_u32_e32 v6, 1, v3
	v_cmp_le_u32_e32 vcc, s28, v4
	v_cndmask_b32_e32 v3, v3, v6, vcc
	v_mov_b32_e32 v4, v5
.LBB0_6:                                ;   in Loop: Header=BB0_2 Depth=1
	s_or_b64 exec, exec, s[0:1]
	v_mul_lo_u32 v6, v4, s28
	v_mul_lo_u32 v11, v3, s29
	v_mad_u64_u32 v[9:10], s[0:1], v3, s28, 0
	s_load_dwordx2 s[0:1], s[22:23], 0x0
	s_load_dwordx2 s[28:29], s[6:7], 0x0
	v_add3_u32 v6, v10, v11, v6
	v_sub_co_u32_e32 v7, vcc, v7, v9
	v_subb_co_u32_e32 v6, vcc, v8, v6, vcc
	s_waitcnt lgkmcnt(0)
	v_mul_lo_u32 v8, s0, v6
	v_mul_lo_u32 v9, s1, v7
	v_mad_u64_u32 v[13:14], s[0:1], s0, v7, v[13:14]
	v_mul_lo_u32 v6, s28, v6
	v_mul_lo_u32 v10, s29, v7
	v_mad_u64_u32 v[1:2], s[0:1], s28, v7, v[1:2]
	s_add_u32 s26, s26, 1
	s_addc_u32 s27, s27, 0
	s_add_u32 s6, s6, 8
	v_add3_u32 v2, v10, v2, v6
	s_addc_u32 s7, s7, 0
	v_mov_b32_e32 v6, s14
	s_add_u32 s22, s22, 8
	v_mov_b32_e32 v7, s15
	s_addc_u32 s23, s23, 0
	v_cmp_ge_u64_e32 vcc, s[26:27], v[6:7]
	s_add_u32 s24, s24, 8
	v_add3_u32 v14, v9, v14, v8
	s_addc_u32 s25, s25, 0
	s_cbranch_vccnz .LBB0_9
; %bb.7:                                ;   in Loop: Header=BB0_2 Depth=1
	v_mov_b32_e32 v8, v4
	v_mov_b32_e32 v7, v3
	s_branch .LBB0_2
.LBB0_8:
	v_mov_b32_e32 v1, v13
	v_mov_b32_e32 v3, v7
	;; [unrolled: 1-line block ×4, first 2 shown]
.LBB0_9:
	s_load_dwordx2 s[0:1], s[4:5], 0x28
	s_lshl_b64 s[14:15], s[14:15], 3
	s_add_u32 s4, s18, s14
	s_addc_u32 s5, s19, s15
                                        ; implicit-def: $vgpr54
                                        ; implicit-def: $vgpr55
                                        ; implicit-def: $vgpr56
                                        ; implicit-def: $vgpr59
                                        ; implicit-def: $vgpr57
                                        ; implicit-def: $vgpr58
	s_waitcnt lgkmcnt(0)
	v_cmp_gt_u64_e32 vcc, s[0:1], v[3:4]
	v_cmp_le_u64_e64 s[0:1], s[0:1], v[3:4]
	s_and_saveexec_b64 s[6:7], s[0:1]
	s_xor_b64 s[0:1], exec, s[6:7]
; %bb.10:
	s_mov_b32 s6, 0x1c71c72
	v_mul_hi_u32 v5, v0, s6
                                        ; implicit-def: $vgpr13_vgpr14
	v_mul_u32_u24_e32 v5, 0x90, v5
	v_sub_u32_e32 v54, v0, v5
	v_add_u32_e32 v55, 0x90, v54
	v_add_u32_e32 v56, 0x120, v54
	;; [unrolled: 1-line block ×5, first 2 shown]
                                        ; implicit-def: $vgpr0
; %bb.11:
	s_or_saveexec_b64 s[6:7], s[0:1]
                                        ; implicit-def: $vgpr27
                                        ; implicit-def: $vgpr6
                                        ; implicit-def: $vgpr8
                                        ; implicit-def: $vgpr10
                                        ; implicit-def: $vgpr12
                                        ; implicit-def: $vgpr17
                                        ; implicit-def: $vgpr35
                                        ; implicit-def: $vgpr51
                                        ; implicit-def: $vgpr37
                                        ; implicit-def: $vgpr15
                                        ; implicit-def: $vgpr21
                                        ; implicit-def: $vgpr23
                                        ; implicit-def: $vgpr39
                                        ; implicit-def: $vgpr41
                                        ; implicit-def: $vgpr19
                                        ; implicit-def: $vgpr29
                                        ; implicit-def: $vgpr47
                                        ; implicit-def: $vgpr31
                                        ; implicit-def: $vgpr33
                                        ; implicit-def: $vgpr25
                                        ; implicit-def: $vgpr49
                                        ; implicit-def: $vgpr45
                                        ; implicit-def: $vgpr43
                                        ; implicit-def: $vgpr53
	s_xor_b64 exec, exec, s[6:7]
	s_cbranch_execz .LBB0_13
; %bb.12:
	s_add_u32 s0, s16, s14
	s_mov_b32 s14, 0x1c71c72
	v_mul_hi_u32 v5, v0, s14
	s_addc_u32 s1, s17, s15
	s_load_dwordx2 s[0:1], s[0:1], 0x0
	v_mul_u32_u24_e32 v5, 0x90, v5
	v_sub_u32_e32 v54, v0, v5
	v_mad_u64_u32 v[5:6], s[14:15], s20, v54, 0
	s_waitcnt lgkmcnt(0)
	v_mul_lo_u32 v11, s1, v3
	v_mul_lo_u32 v12, s0, v4
	v_mad_u64_u32 v[7:8], s[0:1], s0, v3, 0
	v_mov_b32_e32 v0, v6
	v_mad_u64_u32 v[9:10], s[0:1], s21, v54, v[0:1]
	v_add3_u32 v8, v8, v12, v11
	v_lshlrev_b64 v[7:8], 3, v[7:8]
	v_mov_b32_e32 v0, s9
	v_add_co_u32_e64 v11, s[0:1], s8, v7
	v_add_u32_e32 v57, 0x240, v54
	v_mov_b32_e32 v6, v9
	v_addc_co_u32_e64 v0, s[0:1], v0, v8, s[0:1]
	v_mad_u64_u32 v[9:10], s[0:1], s20, v57, 0
	v_lshlrev_b64 v[7:8], 3, v[13:14]
	v_lshlrev_b64 v[5:6], 3, v[5:6]
	v_add_co_u32_e64 v13, s[0:1], v11, v7
	v_addc_co_u32_e64 v14, s[0:1], v0, v8, s[0:1]
	v_mov_b32_e32 v0, v10
	v_mad_u64_u32 v[7:8], s[0:1], s21, v57, v[0:1]
	v_add_u32_e32 v8, 0x480, v54
	v_mad_u64_u32 v[11:12], s[0:1], s20, v8, 0
	v_add_co_u32_e64 v18, s[0:1], v13, v5
	v_mov_b32_e32 v10, v7
	v_mov_b32_e32 v0, v12
	v_addc_co_u32_e64 v19, s[0:1], v14, v6, s[0:1]
	v_lshlrev_b64 v[5:6], 3, v[9:10]
	v_mad_u64_u32 v[7:8], s[0:1], s21, v8, v[0:1]
	v_add_u32_e32 v10, 0x6c0, v54
	v_mad_u64_u32 v[8:9], s[0:1], s20, v10, 0
	v_add_co_u32_e64 v24, s[0:1], v13, v5
	v_mov_b32_e32 v0, v9
	v_addc_co_u32_e64 v25, s[0:1], v14, v6, s[0:1]
	v_mov_b32_e32 v12, v7
	v_mad_u64_u32 v[9:10], s[0:1], s21, v10, v[0:1]
	v_or_b32_e32 v7, 0x900, v54
	v_lshlrev_b64 v[5:6], 3, v[11:12]
	v_mad_u64_u32 v[10:11], s[0:1], s20, v7, 0
	v_add_co_u32_e64 v28, s[0:1], v13, v5
	v_mov_b32_e32 v0, v11
	v_addc_co_u32_e64 v29, s[0:1], v14, v6, s[0:1]
	v_lshlrev_b64 v[5:6], 3, v[8:9]
	v_mad_u64_u32 v[7:8], s[0:1], s21, v7, v[0:1]
	v_add_u32_e32 v12, 0xb40, v54
	v_mad_u64_u32 v[8:9], s[0:1], s20, v12, 0
	v_add_co_u32_e64 v30, s[0:1], v13, v5
	v_mov_b32_e32 v11, v7
	v_mov_b32_e32 v0, v9
	v_addc_co_u32_e64 v31, s[0:1], v14, v6, s[0:1]
	v_lshlrev_b64 v[5:6], 3, v[10:11]
	v_mad_u64_u32 v[9:10], s[0:1], s21, v12, v[0:1]
	v_add_u32_e32 v55, 0x90, v54
	v_mad_u64_u32 v[10:11], s[0:1], s20, v55, 0
	v_add_co_u32_e64 v32, s[0:1], v13, v5
	v_mov_b32_e32 v0, v11
	v_addc_co_u32_e64 v33, s[0:1], v14, v6, s[0:1]
	v_lshlrev_b64 v[5:6], 3, v[8:9]
	v_mad_u64_u32 v[7:8], s[0:1], s21, v55, v[0:1]
	v_add_u32_e32 v58, 0x2d0, v54
	v_mad_u64_u32 v[8:9], s[0:1], s20, v58, 0
	v_add_co_u32_e64 v38, s[0:1], v13, v5
	v_mov_b32_e32 v11, v7
	v_mov_b32_e32 v0, v9
	v_addc_co_u32_e64 v39, s[0:1], v14, v6, s[0:1]
	v_lshlrev_b64 v[5:6], 3, v[10:11]
	v_mad_u64_u32 v[9:10], s[0:1], s21, v58, v[0:1]
	v_add_u32_e32 v7, 0x510, v54
	;; [unrolled: 15-line block ×9, first 2 shown]
	v_mad_u64_u32 v[10:11], s[0:1], s20, v7, 0
	v_add_co_u32_e64 v82, s[0:1], v13, v5
	v_mov_b32_e32 v0, v11
	v_addc_co_u32_e64 v83, s[0:1], v14, v6, s[0:1]
	v_lshlrev_b64 v[5:6], 3, v[8:9]
	v_mad_u64_u32 v[7:8], s[0:1], s21, v7, v[0:1]
	v_add_u32_e32 v12, 0xcf0, v54
	v_mad_u64_u32 v[8:9], s[0:1], s20, v12, 0
	v_add_co_u32_e64 v84, s[0:1], v13, v5
	v_mov_b32_e32 v11, v7
	v_mov_b32_e32 v0, v9
	v_addc_co_u32_e64 v85, s[0:1], v14, v6, s[0:1]
	v_lshlrev_b64 v[5:6], 3, v[10:11]
	v_mad_u64_u32 v[9:10], s[0:1], s21, v12, v[0:1]
	v_add_co_u32_e64 v86, s[0:1], v13, v5
	v_addc_co_u32_e64 v87, s[0:1], v14, v6, s[0:1]
	v_lshlrev_b64 v[5:6], 3, v[8:9]
	v_add_co_u32_e64 v88, s[0:1], v13, v5
	v_addc_co_u32_e64 v89, s[0:1], v14, v6, s[0:1]
	global_load_dwordx2 v[26:27], v[18:19], off
	global_load_dwordx2 v[5:6], v[24:25], off
	global_load_dwordx2 v[7:8], v[28:29], off
	global_load_dwordx2 v[52:53], v[30:31], off
	global_load_dwordx2 v[9:10], v[32:33], off
	global_load_dwordx2 v[11:12], v[38:39], off
	global_load_dwordx2 v[16:17], v[40:41], off
	global_load_dwordx2 v[42:43], v[46:47], off
	global_load_dwordx2 v[34:35], v[48:49], off
	global_load_dwordx2 v[50:51], v[60:61], off
	global_load_dwordx2 v[36:37], v[62:63], off
	global_load_dwordx2 v[44:45], v[64:65], off
	global_load_dwordx2 v[14:15], v[66:67], off
	global_load_dwordx2 v[20:21], v[68:69], off
	global_load_dwordx2 v[22:23], v[70:71], off
                                        ; kill: killed $vgpr66 killed $vgpr67
                                        ; kill: killed $vgpr48 killed $vgpr49
                                        ; kill: killed $vgpr24 killed $vgpr25
                                        ; kill: killed $vgpr70 killed $vgpr71
                                        ; kill: killed $vgpr62 killed $vgpr63
                                        ; kill: killed $vgpr40 killed $vgpr41
                                        ; kill: killed $vgpr30 killed $vgpr31
                                        ; kill: killed $vgpr46 killed $vgpr47
                                        ; kill: killed $vgpr38 killed $vgpr39
                                        ; kill: killed $vgpr68 killed $vgpr69
                                        ; kill: killed $vgpr60 killed $vgpr61
                                        ; kill: killed $vgpr28 killed $vgpr29
                                        ; kill: killed $vgpr64 killed $vgpr65
                                        ; kill: killed $vgpr32 killed $vgpr33
                                        ; kill: killed $vgpr18 killed $vgpr19
	global_load_dwordx2 v[48:49], v[72:73], off
	global_load_dwordx2 v[38:39], v[74:75], off
	;; [unrolled: 1-line block ×9, first 2 shown]
.LBB0_13:
	s_or_b64 exec, exec, s[6:7]
	s_waitcnt vmcnt(19)
	v_add_f32_e32 v13, v7, v9
	v_add_f32_e32 v0, v26, v7
	v_fmac_f32_e32 v26, -0.5, v13
	v_sub_f32_e32 v13, v8, v10
	v_mov_b32_e32 v62, v26
	s_waitcnt vmcnt(18)
	v_add_f32_e32 v60, v11, v52
	v_fmac_f32_e32 v62, 0xbf5db3d7, v13
	v_fmac_f32_e32 v26, 0x3f5db3d7, v13
	v_add_f32_e32 v13, v5, v52
	v_fmac_f32_e32 v5, -0.5, v60
	v_sub_f32_e32 v60, v53, v12
	v_add_f32_e32 v64, v6, v53
	v_add_f32_e32 v53, v12, v53
	v_fmac_f32_e32 v6, -0.5, v53
	v_add_f32_e32 v13, v11, v13
	v_sub_f32_e32 v11, v52, v11
	v_mov_b32_e32 v65, v6
	v_mov_b32_e32 v63, v5
	v_fmac_f32_e32 v65, 0x3f5db3d7, v11
	v_fmac_f32_e32 v6, 0xbf5db3d7, v11
	v_add_f32_e32 v0, v0, v9
	v_fmac_f32_e32 v63, 0xbf5db3d7, v60
	v_fmac_f32_e32 v5, 0x3f5db3d7, v60
	v_mul_f32_e32 v11, 0xbf5db3d7, v65
	v_mul_f32_e32 v66, 0xbf5db3d7, v6
	v_fmac_f32_e32 v11, 0.5, v63
	v_add_f32_e32 v52, v0, v13
	v_fmac_f32_e32 v66, -0.5, v5
	v_sub_f32_e32 v61, v0, v13
	v_mul_u32_u24_e32 v0, 6, v54
	v_add_f32_e32 v53, v62, v11
	v_add_f32_e32 v60, v26, v66
	v_lshl_add_u32 v72, v0, 2, 0
	ds_write2_b64 v72, v[52:53], v[60:61] offset1:1
	v_sub_f32_e32 v52, v62, v11
	s_waitcnt vmcnt(13)
	v_add_f32_e32 v11, v34, v36
	v_add_f32_e32 v0, v16, v34
	v_fmac_f32_e32 v16, -0.5, v11
	v_sub_f32_e32 v53, v26, v66
	v_sub_f32_e32 v11, v35, v37
	v_mov_b32_e32 v13, v16
	s_waitcnt vmcnt(12)
	v_add_f32_e32 v26, v50, v44
	v_fmac_f32_e32 v13, 0xbf5db3d7, v11
	v_fmac_f32_e32 v16, 0x3f5db3d7, v11
	v_add_f32_e32 v11, v50, v42
	v_fmac_f32_e32 v42, -0.5, v26
	v_sub_f32_e32 v26, v51, v45
	v_mov_b32_e32 v73, v42
	v_fmac_f32_e32 v73, 0xbf5db3d7, v26
	v_fmac_f32_e32 v42, 0x3f5db3d7, v26
	v_add_f32_e32 v26, v51, v45
	v_add_f32_e32 v74, v51, v43
	v_fmac_f32_e32 v43, -0.5, v26
	v_sub_f32_e32 v26, v50, v44
	v_mov_b32_e32 v75, v43
	v_fmac_f32_e32 v75, 0x3f5db3d7, v26
	v_fmac_f32_e32 v43, 0xbf5db3d7, v26
	v_add_f32_e32 v0, v0, v36
	v_add_f32_e32 v11, v44, v11
	v_mul_f32_e32 v26, 0xbf5db3d7, v75
	v_mul_f32_e32 v44, 0xbf5db3d7, v43
	ds_write_b64 v72, v[52:53] offset:16
	v_fmac_f32_e32 v26, 0.5, v73
	v_add_f32_e32 v50, v0, v11
	v_fmac_f32_e32 v44, -0.5, v42
	v_sub_f32_e32 v53, v0, v11
	v_mul_i32_i24_e32 v0, 6, v55
	v_add_f32_e32 v51, v13, v26
	v_add_f32_e32 v52, v16, v44
	v_lshl_add_u32 v0, v0, 2, 0
	ds_write2_b64 v0, v[50:51], v[52:53] offset1:1
	v_sub_f32_e32 v50, v13, v26
	s_waitcnt vmcnt(7)
	v_add_f32_e32 v13, v22, v38
	v_add_f32_e32 v11, v14, v22
	v_fmac_f32_e32 v14, -0.5, v13
	v_sub_f32_e32 v51, v16, v44
	v_sub_f32_e32 v13, v23, v39
	v_mov_b32_e32 v16, v14
	s_waitcnt vmcnt(6)
	v_add_f32_e32 v26, v40, v48
	v_fmac_f32_e32 v16, 0xbf5db3d7, v13
	v_fmac_f32_e32 v14, 0x3f5db3d7, v13
	v_add_f32_e32 v13, v20, v48
	v_fmac_f32_e32 v20, -0.5, v26
	v_sub_f32_e32 v26, v49, v41
	v_mov_b32_e32 v76, v20
	v_fmac_f32_e32 v76, 0xbf5db3d7, v26
	v_fmac_f32_e32 v20, 0x3f5db3d7, v26
	v_add_f32_e32 v26, v41, v49
	v_add_f32_e32 v77, v21, v49
	v_fmac_f32_e32 v21, -0.5, v26
	v_sub_f32_e32 v26, v48, v40
	v_mov_b32_e32 v78, v21
	v_fmac_f32_e32 v78, 0x3f5db3d7, v26
	v_fmac_f32_e32 v21, 0xbf5db3d7, v26
	v_add_f32_e32 v11, v11, v38
	v_add_f32_e32 v13, v40, v13
	v_mul_f32_e32 v26, 0xbf5db3d7, v78
	v_mul_f32_e32 v44, 0xbf5db3d7, v21
	ds_write_b64 v0, v[50:51] offset:16
	v_fmac_f32_e32 v26, 0.5, v76
	v_add_f32_e32 v48, v11, v13
	v_fmac_f32_e32 v44, -0.5, v20
	v_sub_f32_e32 v51, v11, v13
	v_mul_i32_i24_e32 v11, 6, v56
	v_add_f32_e32 v50, v14, v44
	v_lshl_add_u32 v40, v11, 2, 0
	v_sub_f32_e32 v13, v16, v26
	v_sub_f32_e32 v14, v14, v44
	ds_write_b64 v40, v[13:14] offset:16
	s_waitcnt vmcnt(1)
	v_add_f32_e32 v13, v28, v30
	v_add_f32_e32 v11, v18, v28
	v_fmac_f32_e32 v18, -0.5, v13
	v_add_f32_e32 v49, v16, v26
	v_sub_f32_e32 v13, v29, v31
	v_mov_b32_e32 v16, v18
	s_waitcnt vmcnt(0)
	v_add_f32_e32 v14, v46, v32
	v_fmac_f32_e32 v16, 0xbf5db3d7, v13
	v_fmac_f32_e32 v18, 0x3f5db3d7, v13
	v_add_f32_e32 v13, v46, v24
	v_fmac_f32_e32 v24, -0.5, v14
	v_sub_f32_e32 v14, v47, v33
	v_mov_b32_e32 v79, v24
	v_fmac_f32_e32 v79, 0xbf5db3d7, v14
	v_fmac_f32_e32 v24, 0x3f5db3d7, v14
	v_add_f32_e32 v14, v47, v33
	v_add_f32_e32 v11, v11, v30
	;; [unrolled: 1-line block ×4, first 2 shown]
	v_fmac_f32_e32 v25, -0.5, v14
	v_add_f32_e32 v13, v11, v26
	v_sub_f32_e32 v47, v11, v26
	v_mul_i32_i24_e32 v11, 6, v59
	v_sub_f32_e32 v14, v46, v32
	v_mov_b32_e32 v81, v25
	v_lshl_add_u32 v44, v11, 2, 0
	v_add_f32_e32 v11, v27, v8
	v_add_f32_e32 v8, v8, v10
	v_fmac_f32_e32 v81, 0x3f5db3d7, v14
	v_fmac_f32_e32 v25, 0xbf5db3d7, v14
	v_fmac_f32_e32 v27, -0.5, v8
	ds_write2_b64 v40, v[48:49], v[50:51] offset1:1
	v_mul_f32_e32 v32, 0xbf5db3d7, v81
	v_mul_f32_e32 v48, 0xbf5db3d7, v25
	v_sub_f32_e32 v7, v7, v9
	v_mul_f32_e32 v82, -0.5, v6
	v_mov_b32_e32 v83, v27
	v_mul_f32_e32 v84, 0x3f5db3d7, v63
	v_fmac_f32_e32 v32, 0.5, v79
	v_fmac_f32_e32 v48, -0.5, v24
	v_add_f32_e32 v9, v11, v10
	v_add_f32_e32 v10, v12, v64
	v_fmac_f32_e32 v82, 0x3f5db3d7, v5
	v_fmac_f32_e32 v83, 0x3f5db3d7, v7
	;; [unrolled: 1-line block ×3, first 2 shown]
	v_fmac_f32_e32 v84, 0.5, v65
	s_movk_i32 s0, 0xffec
	v_add_f32_e32 v14, v16, v32
	v_add_f32_e32 v46, v18, v48
	v_sub_f32_e32 v5, v16, v32
	v_sub_f32_e32 v6, v18, v48
	v_add_f32_e32 v68, v9, v10
	v_add_f32_e32 v69, v83, v84
	v_sub_f32_e32 v71, v9, v10
	v_add_f32_e32 v70, v27, v82
	v_mad_i32_i24 v26, v54, s0, v72
	v_mad_i32_i24 v32, v56, s0, v40
	ds_write2_b64 v44, v[13:14], v[46:47] offset1:1
	s_load_dwordx2 s[4:5], s[4:5], 0x0
	ds_write_b64 v44, v[5:6] offset:16
	s_waitcnt lgkmcnt(0)
	s_barrier
	ds_read_b32 v65, v26
	v_lshl_add_u32 v46, v57, 2, 0
	v_add_u32_e32 v51, 0xf00, v26
	v_add_u32_e32 v50, 0x1800, v26
	;; [unrolled: 1-line block ×4, first 2 shown]
	v_mad_i32_i24 v16, v55, s0, v0
	v_add_u32_e32 v60, 0xa00, v26
	v_add_u32_e32 v61, 0x1400, v26
	;; [unrolled: 1-line block ×5, first 2 shown]
	v_mad_i32_i24 v18, v59, s0, v44
	ds_read_b32 v63, v32
	ds_read_b32 v62, v18
	;; [unrolled: 1-line block ×4, first 2 shown]
	ds_read_b32 v66, v26 offset:13248
	ds_read2_b32 v[13:14], v51 offset0:48 offset1:192
	ds_read2_b32 v[11:12], v50 offset0:48 offset1:192
	ds_read2_b32 v[9:10], v49 offset0:48 offset1:192
	ds_read2_b32 v[7:8], v47 offset0:48 offset1:192
	ds_read2_b32 v[96:97], v60 offset0:80 offset1:224
	ds_read2_b32 v[98:99], v61 offset0:16 offset1:160
	ds_read2_b32 v[100:101], v53 offset0:80 offset1:224
	ds_read2_b32 v[102:103], v52 offset0:16 offset1:160
	ds_read2_b32 v[5:6], v48 offset0:80 offset1:224
	s_waitcnt lgkmcnt(0)
	s_barrier
	ds_write2_b64 v72, v[68:69], v[70:71] offset1:1
	v_sub_f32_e32 v69, v27, v82
	v_add_f32_e32 v27, v17, v35
	v_add_f32_e32 v35, v35, v37
	v_mul_f32_e32 v43, -0.5, v43
	v_fmac_f32_e32 v17, -0.5, v35
	v_sub_f32_e32 v34, v34, v36
	v_add_f32_e32 v36, v45, v74
	v_fmac_f32_e32 v43, 0x3f5db3d7, v42
	v_mov_b32_e32 v42, v17
	v_mul_f32_e32 v45, 0x3f5db3d7, v73
	v_add_f32_e32 v27, v27, v37
	v_fmac_f32_e32 v42, 0x3f5db3d7, v34
	v_fmac_f32_e32 v17, 0xbf5db3d7, v34
	v_fmac_f32_e32 v45, 0.5, v75
	v_sub_f32_e32 v68, v83, v84
	v_add_f32_e32 v34, v27, v36
	v_add_f32_e32 v35, v42, v45
	v_sub_f32_e32 v37, v27, v36
	v_add_f32_e32 v36, v17, v43
	ds_write_b64 v72, v[68:69] offset:16
	ds_write2_b64 v0, v[34:35], v[36:37] offset1:1
	v_sub_f32_e32 v35, v17, v43
	v_add_f32_e32 v17, v15, v23
	v_add_f32_e32 v23, v23, v39
	v_sub_f32_e32 v22, v22, v38
	v_mul_f32_e32 v21, -0.5, v21
	v_fmac_f32_e32 v15, -0.5, v23
	v_add_f32_e32 v17, v17, v39
	v_add_f32_e32 v27, v41, v77
	v_fmac_f32_e32 v21, 0x3f5db3d7, v20
	v_mov_b32_e32 v38, v15
	v_fmac_f32_e32 v15, 0xbf5db3d7, v22
	v_add_f32_e32 v20, v15, v21
	v_sub_f32_e32 v23, v15, v21
	v_sub_f32_e32 v21, v17, v27
	v_add_f32_e32 v36, v17, v27
	v_add_f32_e32 v17, v29, v31
	;; [unrolled: 1-line block ×3, first 2 shown]
	v_fmac_f32_e32 v19, -0.5, v17
	v_sub_f32_e32 v27, v28, v30
	v_mul_f32_e32 v25, -0.5, v25
	v_mov_b32_e32 v17, v19
	v_fmac_f32_e32 v38, 0x3f5db3d7, v22
	v_mul_f32_e32 v22, 0x3f5db3d7, v76
	v_add_f32_e32 v15, v15, v31
	v_add_f32_e32 v29, v33, v80
	v_fmac_f32_e32 v25, 0x3f5db3d7, v24
	v_fmac_f32_e32 v17, 0x3f5db3d7, v27
	;; [unrolled: 1-line block ×3, first 2 shown]
	v_mul_f32_e32 v27, 0x3f5db3d7, v79
	s_mov_b32 s0, 0xaaab
	v_sub_f32_e32 v34, v42, v45
	v_fmac_f32_e32 v22, 0.5, v78
	v_fmac_f32_e32 v27, 0.5, v81
	v_add_f32_e32 v24, v19, v25
	v_sub_f32_e32 v28, v19, v25
	v_sub_f32_e32 v25, v15, v29
	v_add_f32_e32 v29, v15, v29
	v_mul_u32_u24_sdwa v15, v55, s0 dst_sel:DWORD dst_unused:UNUSED_PAD src0_sel:WORD_0 src1_sel:DWORD
	v_add_f32_e32 v37, v38, v22
	v_sub_f32_e32 v22, v38, v22
	v_add_f32_e32 v30, v17, v27
	v_sub_f32_e32 v27, v17, v27
	ds_write_b64 v0, v[34:35] offset:16
	ds_write2_b64 v40, v[36:37], v[20:21] offset1:1
	ds_write_b64 v40, v[22:23] offset:16
	ds_write2_b64 v44, v[29:30], v[24:25] offset1:1
	ds_write_b64 v44, v[27:28] offset:16
	v_lshrrev_b32_e32 v21, 18, v15
	v_mul_lo_u16_e32 v15, 6, v21
	v_sub_u16_e32 v22, v55, v15
	v_mul_u32_u24_sdwa v17, v56, s0 dst_sel:DWORD dst_unused:UNUSED_PAD src0_sel:WORD_0 src1_sel:DWORD
	v_mul_u32_u24_e32 v15, 5, v22
	v_lshrrev_b32_e32 v19, 18, v17
	v_lshlrev_b32_e32 v15, 3, v15
	v_mul_lo_u16_e32 v17, 6, v19
	s_waitcnt lgkmcnt(0)
	s_barrier
	global_load_dwordx4 v[33:36], v15, s[12:13]
	v_sub_u16_e32 v20, v56, v17
	v_mul_u32_u24_e32 v17, 5, v20
	v_lshlrev_b32_e32 v25, 3, v17
	global_load_dwordx4 v[68:71], v25, s[12:13]
	global_load_dwordx4 v[72:75], v15, s[12:13] offset:16
	global_load_dwordx4 v[76:79], v25, s[12:13] offset:16
	s_movk_i32 s1, 0xab
	v_mul_lo_u16_sdwa v17, v54, s1 dst_sel:DWORD dst_unused:UNUSED_PAD src0_sel:BYTE_0 src1_sel:DWORD
	v_lshrrev_b16_e32 v43, 10, v17
	v_mul_lo_u16_e32 v17, 6, v43
	v_sub_u16_e32 v45, v54, v17
	v_mov_b32_e32 v17, 5
	v_mul_u32_u24_sdwa v23, v45, v17 dst_sel:DWORD dst_unused:UNUSED_PAD src0_sel:BYTE_0 src1_sel:DWORD
	v_lshlrev_b32_e32 v27, 3, v23
	global_load_dwordx4 v[80:83], v27, s[12:13]
	v_mul_u32_u24_sdwa v23, v59, s0 dst_sel:DWORD dst_unused:UNUSED_PAD src0_sel:WORD_0 src1_sel:DWORD
	v_lshrrev_b32_e32 v23, 18, v23
	v_mul_lo_u16_e32 v24, 6, v23
	v_sub_u16_e32 v24, v59, v24
	v_mul_u32_u24_e32 v28, 5, v24
	v_lshlrev_b32_e32 v28, 3, v28
	global_load_dwordx4 v[84:87], v28, s[12:13]
	global_load_dwordx4 v[88:91], v27, s[12:13] offset:16
	global_load_dwordx4 v[92:95], v28, s[12:13] offset:16
	ds_read2_b32 v[29:30], v60 offset0:80 offset1:224
	ds_read2_b32 v[37:38], v61 offset0:16 offset1:160
	global_load_dwordx2 v[41:42], v27, s[12:13] offset:32
	global_load_dwordx2 v[108:109], v28, s[12:13] offset:32
	;; [unrolled: 1-line block ×4, first 2 shown]
	s_mov_b32 s0, 0xe38f
	s_waitcnt vmcnt(11)
	v_mul_f32_e32 v31, v96, v34
	v_mul_f32_e32 v15, v98, v36
	s_waitcnt lgkmcnt(1)
	v_mul_f32_e32 v27, v29, v34
	v_fma_f32 v29, v29, v33, -v31
	s_waitcnt lgkmcnt(0)
	v_mul_f32_e32 v31, v37, v36
	v_fma_f32 v34, v37, v35, -v15
	s_waitcnt vmcnt(10)
	v_mul_f32_e32 v15, v97, v69
	v_fmac_f32_e32 v31, v98, v35
	v_fma_f32 v28, v30, v68, -v15
	ds_read2_b32 v[35:36], v53 offset0:80 offset1:224
	v_mul_f32_e32 v15, v99, v71
	v_fmac_f32_e32 v27, v96, v33
	v_mul_f32_e32 v25, v30, v69
	v_mul_f32_e32 v30, v38, v71
	v_fma_f32 v33, v38, v70, -v15
	ds_read2_b32 v[38:39], v52 offset0:16 offset1:160
	s_waitcnt vmcnt(9)
	v_mul_f32_e32 v15, v100, v73
	s_waitcnt lgkmcnt(1)
	v_fma_f32 v71, v35, v72, -v15
	v_mul_f32_e32 v15, v102, v75
	v_fmac_f32_e32 v30, v99, v70
	v_mul_f32_e32 v70, v35, v73
	s_waitcnt lgkmcnt(0)
	v_mul_f32_e32 v37, v38, v75
	v_fma_f32 v38, v38, v74, -v15
	s_waitcnt vmcnt(8)
	v_mul_f32_e32 v15, v101, v77
	v_fmac_f32_e32 v70, v100, v72
	v_mul_f32_e32 v72, v36, v77
	v_fma_f32 v73, v36, v76, -v15
	v_mul_f32_e32 v15, v103, v79
	v_fmac_f32_e32 v25, v97, v68
	v_fmac_f32_e32 v37, v102, v74
	;; [unrolled: 1-line block ×3, first 2 shown]
	v_mul_f32_e32 v35, v39, v79
	v_fma_f32 v36, v39, v78, -v15
	ds_read2_b32 v[68:69], v51 offset0:48 offset1:192
	ds_read_b32 v15, v46
	ds_read_b32 v39, v16
	;; [unrolled: 1-line block ×4, first 2 shown]
	ds_read_b32 v76, v26 offset:13248
	v_fmac_f32_e32 v35, v103, v78
	s_waitcnt vmcnt(7) lgkmcnt(4)
	v_mul_f32_e32 v77, v15, v81
	v_mul_f32_e32 v78, v69, v83
	v_fmac_f32_e32 v77, v67, v80
	v_mul_f32_e32 v67, v67, v81
	v_fmac_f32_e32 v78, v14, v82
	v_mul_f32_e32 v14, v14, v83
	v_fma_f32 v67, v15, v80, -v67
	v_fma_f32 v69, v69, v82, -v14
	ds_read2_b32 v[14:15], v50 offset0:48 offset1:192
	s_waitcnt vmcnt(6)
	v_mul_f32_e32 v79, v68, v85
	v_fmac_f32_e32 v79, v13, v84
	v_mul_f32_e32 v13, v13, v85
	v_fma_f32 v68, v68, v84, -v13
	s_waitcnt lgkmcnt(0)
	v_mul_f32_e32 v80, v14, v87
	v_fmac_f32_e32 v80, v11, v86
	v_mul_f32_e32 v11, v11, v87
	v_fma_f32 v81, v14, v86, -v11
	ds_read2_b32 v[13:14], v49 offset0:48 offset1:192
	s_waitcnt vmcnt(5)
	v_mul_f32_e32 v82, v15, v89
	v_mul_f32_e32 v11, v12, v89
	v_fmac_f32_e32 v82, v12, v88
	v_fma_f32 v12, v15, v88, -v11
	s_waitcnt lgkmcnt(0)
	v_mul_f32_e32 v83, v14, v91
	v_fmac_f32_e32 v83, v10, v90
	v_mul_f32_e32 v10, v10, v91
	v_fma_f32 v14, v14, v90, -v10
	ds_read2_b32 v[10:11], v47 offset0:48 offset1:192
	s_waitcnt vmcnt(4)
	v_mul_f32_e32 v84, v13, v93
	v_fmac_f32_e32 v84, v9, v92
	v_mul_f32_e32 v9, v9, v93
	v_fma_f32 v13, v13, v92, -v9
	s_waitcnt lgkmcnt(0)
	v_mul_f32_e32 v85, v10, v95
	v_fmac_f32_e32 v85, v7, v94
	v_mul_f32_e32 v7, v7, v95
	v_fma_f32 v86, v10, v94, -v7
	ds_read2_b32 v[9:10], v48 offset0:80 offset1:224
	s_waitcnt vmcnt(3)
	v_mul_f32_e32 v7, v11, v42
	v_fmac_f32_e32 v7, v8, v41
	v_mul_f32_e32 v8, v8, v42
	v_fma_f32 v8, v11, v41, -v8
	s_waitcnt vmcnt(1) lgkmcnt(0)
	v_mul_f32_e32 v11, v9, v105
	v_fmac_f32_e32 v11, v5, v104
	v_mul_f32_e32 v5, v5, v105
	v_fma_f32 v87, v9, v104, -v5
	s_waitcnt vmcnt(0)
	v_mul_f32_e32 v5, v10, v107
	v_fmac_f32_e32 v5, v6, v106
	v_mul_f32_e32 v6, v6, v107
	v_fma_f32 v88, v10, v106, -v6
	v_mul_f32_e32 v6, v76, v109
	v_mul_f32_e32 v9, v66, v109
	v_add_f32_e32 v10, v78, v83
	v_add_f32_e32 v15, v82, v7
	v_fmac_f32_e32 v6, v66, v108
	v_fma_f32 v66, v76, v108, -v9
	v_add_f32_e32 v9, v65, v78
	v_fmac_f32_e32 v65, -0.5, v10
	v_add_f32_e32 v10, v77, v82
	v_fmac_f32_e32 v77, -0.5, v15
	v_add_f32_e32 v15, v12, v8
	v_add_f32_e32 v41, v67, v12
	v_fmac_f32_e32 v67, -0.5, v15
	v_add_f32_e32 v10, v10, v7
	v_sub_f32_e32 v7, v82, v7
	v_mov_b32_e32 v15, 2
	v_mul_u32_u24_e32 v42, 0x90, v43
	v_lshlrev_b32_sdwa v43, v15, v45 dst_sel:DWORD dst_unused:UNUSED_PAD src0_sel:DWORD src1_sel:BYTE_0
	v_add_f32_e32 v9, v9, v83
	v_sub_f32_e32 v12, v12, v8
	v_mov_b32_e32 v82, v67
	v_fmac_f32_e32 v67, 0xbf5db3d7, v7
	v_add3_u32 v43, 0, v42, v43
	v_sub_f32_e32 v42, v69, v14
	v_mov_b32_e32 v76, v77
	v_fmac_f32_e32 v82, 0x3f5db3d7, v7
	v_add_f32_e32 v91, v9, v10
	v_fmac_f32_e32 v77, 0x3f5db3d7, v12
	v_sub_f32_e32 v7, v9, v10
	v_mul_f32_e32 v9, 0xbf5db3d7, v67
	v_mov_b32_e32 v45, v65
	v_fmac_f32_e32 v76, 0xbf5db3d7, v12
	v_mul_f32_e32 v90, 0xbf5db3d7, v82
	v_fmac_f32_e32 v65, 0x3f5db3d7, v42
	v_fmac_f32_e32 v9, -0.5, v77
	v_fmac_f32_e32 v45, 0xbf5db3d7, v42
	v_fmac_f32_e32 v90, 0.5, v76
	v_add_f32_e32 v10, v65, v9
	ds_read_b32 v89, v26
	s_waitcnt lgkmcnt(0)
	s_barrier
	ds_write2_b32 v43, v10, v7 offset0:12 offset1:18
	v_sub_f32_e32 v7, v45, v90
	v_sub_f32_e32 v9, v65, v9
	ds_write2_b32 v43, v7, v9 offset0:24 offset1:30
	v_add_f32_e32 v9, v31, v37
	v_add_f32_e32 v10, v70, v11
	;; [unrolled: 1-line block ×3, first 2 shown]
	v_fmac_f32_e32 v64, -0.5, v9
	v_add_f32_e32 v9, v27, v70
	v_fmac_f32_e32 v27, -0.5, v10
	v_add_f32_e32 v10, v71, v87
	v_add_f32_e32 v92, v45, v90
	;; [unrolled: 1-line block ×3, first 2 shown]
	v_fmac_f32_e32 v29, -0.5, v10
	v_sub_f32_e32 v10, v70, v11
	v_add_f32_e32 v9, v9, v11
	v_mul_u32_u24_e32 v11, 0x90, v21
	v_lshlrev_b32_e32 v12, 2, v22
	v_add_f32_e32 v7, v7, v37
	v_sub_f32_e32 v21, v71, v87
	v_mov_b32_e32 v71, v29
	v_fmac_f32_e32 v29, 0xbf5db3d7, v10
	v_add3_u32 v65, 0, v11, v12
	v_sub_f32_e32 v11, v34, v38
	v_mov_b32_e32 v70, v27
	v_fmac_f32_e32 v71, 0x3f5db3d7, v10
	v_add_f32_e32 v42, v7, v9
	v_fmac_f32_e32 v27, 0x3f5db3d7, v21
	v_sub_f32_e32 v7, v7, v9
	v_mul_f32_e32 v9, 0xbf5db3d7, v29
	v_mov_b32_e32 v12, v64
	v_fmac_f32_e32 v70, 0xbf5db3d7, v21
	v_mul_f32_e32 v22, 0xbf5db3d7, v71
	v_fmac_f32_e32 v64, 0x3f5db3d7, v11
	v_fmac_f32_e32 v9, -0.5, v27
	v_fmac_f32_e32 v12, 0xbf5db3d7, v11
	v_fmac_f32_e32 v22, 0.5, v70
	v_add_f32_e32 v10, v64, v9
	ds_write2_b32 v43, v91, v92 offset1:6
	ds_write2_b32 v65, v10, v7 offset0:12 offset1:18
	v_sub_f32_e32 v7, v12, v22
	v_sub_f32_e32 v9, v64, v9
	ds_write2_b32 v65, v7, v9 offset0:24 offset1:30
	v_add_f32_e32 v9, v30, v35
	v_add_f32_e32 v10, v72, v5
	;; [unrolled: 1-line block ×3, first 2 shown]
	v_fmac_f32_e32 v63, -0.5, v9
	v_add_f32_e32 v9, v25, v72
	v_fmac_f32_e32 v25, -0.5, v10
	v_add_f32_e32 v10, v73, v88
	v_add_f32_e32 v64, v28, v73
	v_fmac_f32_e32 v28, -0.5, v10
	v_add_f32_e32 v9, v9, v5
	v_sub_f32_e32 v5, v72, v5
	v_add_f32_e32 v90, v12, v22
	v_mul_u32_u24_e32 v10, 0x90, v19
	v_lshlrev_b32_e32 v11, 2, v20
	v_add_f32_e32 v7, v7, v35
	v_sub_f32_e32 v12, v73, v88
	v_mov_b32_e32 v96, v28
	v_fmac_f32_e32 v28, 0xbf5db3d7, v5
	v_add3_u32 v72, 0, v10, v11
	v_sub_f32_e32 v10, v33, v36
	v_mov_b32_e32 v73, v25
	v_fmac_f32_e32 v96, 0x3f5db3d7, v5
	v_add_f32_e32 v20, v7, v9
	v_fmac_f32_e32 v25, 0x3f5db3d7, v12
	v_sub_f32_e32 v5, v7, v9
	v_mul_f32_e32 v7, 0xbf5db3d7, v28
	v_mov_b32_e32 v11, v63
	v_fmac_f32_e32 v73, 0xbf5db3d7, v12
	v_mul_f32_e32 v19, 0xbf5db3d7, v96
	v_fmac_f32_e32 v63, 0x3f5db3d7, v10
	v_fmac_f32_e32 v7, -0.5, v25
	v_fmac_f32_e32 v11, 0xbf5db3d7, v10
	v_fmac_f32_e32 v19, 0.5, v73
	v_add_f32_e32 v9, v63, v7
	ds_write2_b32 v65, v42, v90 offset1:6
	ds_write2_b32 v72, v9, v5 offset0:12 offset1:18
	v_sub_f32_e32 v5, v11, v19
	v_sub_f32_e32 v7, v63, v7
	ds_write2_b32 v72, v5, v7 offset0:24 offset1:30
	v_add_f32_e32 v7, v80, v85
	v_add_f32_e32 v9, v84, v6
	;; [unrolled: 1-line block ×3, first 2 shown]
	v_fmac_f32_e32 v62, -0.5, v7
	v_add_f32_e32 v7, v79, v84
	v_fmac_f32_e32 v79, -0.5, v9
	v_add_f32_e32 v9, v13, v66
	v_add_f32_e32 v63, v68, v13
	v_fmac_f32_e32 v68, -0.5, v9
	v_add_f32_e32 v7, v7, v6
	v_sub_f32_e32 v6, v84, v6
	v_add_f32_e32 v21, v11, v19
	v_mul_u32_u24_e32 v9, 0x90, v23
	v_lshlrev_b32_e32 v10, 2, v24
	v_sub_f32_e32 v11, v13, v66
	v_mov_b32_e32 v98, v68
	v_fmac_f32_e32 v68, 0xbf5db3d7, v6
	v_add3_u32 v84, 0, v9, v10
	v_sub_f32_e32 v9, v81, v86
	v_mov_b32_e32 v97, v79
	v_fmac_f32_e32 v98, 0x3f5db3d7, v6
	v_fmac_f32_e32 v79, 0x3f5db3d7, v11
	v_mul_f32_e32 v6, 0xbf5db3d7, v68
	v_add_f32_e32 v5, v5, v85
	v_mov_b32_e32 v10, v62
	v_fmac_f32_e32 v97, 0xbf5db3d7, v11
	v_mul_f32_e32 v12, 0xbf5db3d7, v98
	v_fmac_f32_e32 v62, 0x3f5db3d7, v9
	v_fmac_f32_e32 v6, -0.5, v79
	v_fmac_f32_e32 v10, 0xbf5db3d7, v9
	v_fmac_f32_e32 v12, 0.5, v97
	v_add_f32_e32 v13, v5, v7
	v_sub_f32_e32 v5, v5, v7
	v_add_f32_e32 v7, v62, v6
	ds_write2_b32 v72, v20, v21 offset1:6
	ds_write2_b32 v84, v7, v5 offset0:12 offset1:18
	v_sub_f32_e32 v5, v10, v12
	v_sub_f32_e32 v6, v62, v6
	ds_write2_b32 v84, v5, v6 offset0:24 offset1:30
	v_add_f32_e32 v5, v89, v69
	v_add_f32_e32 v62, v5, v14
	;; [unrolled: 1-line block ×3, first 2 shown]
	v_fmac_f32_e32 v89, -0.5, v5
	v_sub_f32_e32 v69, v78, v83
	v_mul_f32_e32 v82, 0.5, v82
	v_mul_f32_e32 v67, -0.5, v67
	v_add_f32_e32 v78, v41, v8
	v_fmac_f32_e32 v82, 0x3f5db3d7, v76
	v_mov_b32_e32 v76, v89
	v_fmac_f32_e32 v89, 0xbf5db3d7, v69
	v_fmac_f32_e32 v67, 0x3f5db3d7, v77
	v_add_f32_e32 v19, v10, v12
	v_fmac_f32_e32 v76, 0x3f5db3d7, v69
	v_add_f32_e32 v83, v62, v78
	v_sub_f32_e32 v62, v62, v78
	v_add_f32_e32 v69, v89, v67
	ds_write2_b32 v84, v13, v19 offset1:6
	s_waitcnt lgkmcnt(0)
	s_barrier
	ds_read_b32 v22, v26
	ds_read_b32 v20, v32
	;; [unrolled: 1-line block ×5, first 2 shown]
	ds_read_b32 v23, v26 offset:13248
	ds_read2_b32 v[13:14], v51 offset0:48 offset1:192
	ds_read2_b32 v[11:12], v50 offset0:48 offset1:192
	ds_read2_b32 v[9:10], v49 offset0:48 offset1:192
	ds_read2_b32 v[7:8], v47 offset0:48 offset1:192
	ds_read2_b32 v[41:42], v60 offset0:80 offset1:224
	ds_read2_b32 v[90:91], v61 offset0:16 offset1:160
	ds_read2_b32 v[92:93], v53 offset0:80 offset1:224
	ds_read2_b32 v[94:95], v52 offset0:16 offset1:160
	ds_read2_b32 v[5:6], v48 offset0:80 offset1:224
	s_waitcnt lgkmcnt(0)
	s_barrier
	v_add_f32_e32 v99, v76, v82
	ds_write2_b32 v43, v69, v62 offset0:12 offset1:18
	v_sub_f32_e32 v62, v76, v82
	v_sub_f32_e32 v67, v89, v67
	ds_write2_b32 v43, v83, v99 offset1:6
	ds_write2_b32 v43, v62, v67 offset0:24 offset1:30
	v_add_f32_e32 v43, v39, v34
	v_add_f32_e32 v34, v34, v38
	v_fmac_f32_e32 v39, -0.5, v34
	v_sub_f32_e32 v31, v31, v37
	v_mul_f32_e32 v29, -0.5, v29
	v_add_f32_e32 v43, v43, v38
	v_add_f32_e32 v34, v45, v87
	v_mul_f32_e32 v37, 0.5, v71
	v_mov_b32_e32 v38, v39
	v_fmac_f32_e32 v39, 0xbf5db3d7, v31
	v_fmac_f32_e32 v29, 0x3f5db3d7, v27
	;; [unrolled: 1-line block ×4, first 2 shown]
	v_sub_f32_e32 v27, v43, v34
	v_add_f32_e32 v31, v39, v29
	ds_write2_b32 v65, v31, v27 offset0:12 offset1:18
	v_sub_f32_e32 v27, v38, v37
	v_sub_f32_e32 v29, v39, v29
	ds_write2_b32 v65, v27, v29 offset0:24 offset1:30
	v_add_f32_e32 v29, v33, v36
	v_add_f32_e32 v27, v74, v33
	v_fmac_f32_e32 v74, -0.5, v29
	v_sub_f32_e32 v29, v30, v35
	v_mul_f32_e32 v28, -0.5, v28
	v_add_f32_e32 v27, v27, v36
	v_add_f32_e32 v30, v64, v88
	v_mov_b32_e32 v33, v74
	v_fmac_f32_e32 v74, 0xbf5db3d7, v29
	v_fmac_f32_e32 v28, 0x3f5db3d7, v25
	v_add_f32_e32 v45, v43, v34
	v_add_f32_e32 v62, v38, v37
	v_mul_f32_e32 v31, 0.5, v96
	v_fmac_f32_e32 v33, 0x3f5db3d7, v29
	v_add_f32_e32 v34, v27, v30
	v_sub_f32_e32 v25, v27, v30
	v_add_f32_e32 v27, v74, v28
	v_add_f32_e32 v29, v81, v86
	ds_write2_b32 v65, v45, v62 offset1:6
	v_fmac_f32_e32 v31, 0x3f5db3d7, v73
	ds_write2_b32 v72, v27, v25 offset0:12 offset1:18
	v_sub_f32_e32 v27, v74, v28
	v_add_f32_e32 v28, v75, v81
	v_fmac_f32_e32 v75, -0.5, v29
	v_add_f32_e32 v35, v33, v31
	v_sub_f32_e32 v25, v33, v31
	v_sub_f32_e32 v29, v80, v85
	v_mov_b32_e32 v30, v75
	v_mul_f32_e32 v31, 0.5, v98
	v_mul_f32_e32 v33, -0.5, v68
	v_add_f32_e32 v28, v28, v86
	v_fmac_f32_e32 v30, 0x3f5db3d7, v29
	v_fmac_f32_e32 v75, 0xbf5db3d7, v29
	v_add_f32_e32 v29, v63, v66
	v_fmac_f32_e32 v31, 0x3f5db3d7, v97
	v_fmac_f32_e32 v33, 0x3f5db3d7, v79
	ds_write2_b32 v72, v34, v35 offset1:6
	v_add_f32_e32 v34, v28, v29
	v_sub_f32_e32 v28, v28, v29
	v_add_f32_e32 v29, v30, v31
	v_sub_f32_e32 v30, v30, v31
	;; [unrolled: 2-line block ×3, first 2 shown]
	ds_write2_b32 v72, v25, v27 offset0:24 offset1:30
	ds_write2_b32 v84, v34, v29 offset1:6
	ds_write2_b32 v84, v31, v28 offset0:12 offset1:18
	ds_write2_b32 v84, v30, v33 offset0:24 offset1:30
	v_mul_u32_u24_sdwa v25, v55, s0 dst_sel:DWORD dst_unused:UNUSED_PAD src0_sel:WORD_0 src1_sel:DWORD
	v_lshrrev_b32_e32 v28, 21, v25
	v_mul_lo_u16_e32 v25, 36, v28
	v_sub_u16_e32 v30, v55, v25
	v_mul_u32_u24_e32 v25, 5, v30
	v_lshlrev_b32_e32 v31, 3, v25
	s_waitcnt lgkmcnt(0)
	s_barrier
	global_load_dwordx4 v[35:38], v31, s[12:13] offset:240
	v_mul_u32_u24_sdwa v25, v56, s0 dst_sel:DWORD dst_unused:UNUSED_PAD src0_sel:WORD_0 src1_sel:DWORD
	v_lshrrev_b32_e32 v25, 21, v25
	v_mul_lo_u16_e32 v27, 36, v25
	v_sub_u16_e32 v27, v56, v27
	v_mul_u32_u24_e32 v29, 5, v27
	v_lshlrev_b32_e32 v39, 3, v29
	global_load_dwordx4 v[62:65], v39, s[12:13] offset:240
	global_load_dwordx4 v[66:69], v31, s[12:13] offset:256
	;; [unrolled: 1-line block ×3, first 2 shown]
	v_mov_b32_e32 v29, 57
	v_mul_lo_u16_sdwa v29, v54, v29 dst_sel:DWORD dst_unused:UNUSED_PAD src0_sel:BYTE_0 src1_sel:DWORD
	v_lshrrev_b16_e32 v102, 11, v29
	v_mul_lo_u16_e32 v29, 36, v102
	v_sub_u16_e32 v103, v54, v29
	v_mul_u32_u24_sdwa v17, v103, v17 dst_sel:DWORD dst_unused:UNUSED_PAD src0_sel:BYTE_0 src1_sel:DWORD
	v_lshlrev_b32_e32 v17, 3, v17
	global_load_dwordx4 v[74:77], v17, s[12:13] offset:240
	v_mul_u32_u24_sdwa v29, v59, s0 dst_sel:DWORD dst_unused:UNUSED_PAD src0_sel:WORD_0 src1_sel:DWORD
	v_lshrrev_b32_e32 v33, 21, v29
	v_mul_lo_u16_e32 v29, 36, v33
	v_sub_u16_e32 v34, v59, v29
	v_mul_u32_u24_e32 v29, 5, v34
	v_lshlrev_b32_e32 v43, 3, v29
	global_load_dwordx4 v[78:81], v43, s[12:13] offset:240
	global_load_dwordx4 v[82:85], v17, s[12:13] offset:256
	;; [unrolled: 1-line block ×3, first 2 shown]
	ds_read2_b32 v[96:97], v60 offset0:80 offset1:224
	ds_read2_b32 v[60:61], v61 offset0:16 offset1:160
	global_load_dwordx2 v[98:99], v17, s[12:13] offset:272
	global_load_dwordx2 v[100:101], v31, s[12:13] offset:272
	v_lshlrev_b32_sdwa v15, v15, v103 dst_sel:DWORD dst_unused:UNUSED_PAD src0_sel:DWORD src1_sel:BYTE_0
	s_movk_i32 s0, 0x48
	v_cmp_gt_u32_e64 s[0:1], s0, v54
	s_waitcnt vmcnt(9) lgkmcnt(1)
	v_mul_f32_e32 v29, v96, v36
	v_mul_f32_e32 v17, v41, v36
	v_fmac_f32_e32 v29, v41, v35
	v_fma_f32 v31, v96, v35, -v17
	global_load_dwordx2 v[35:36], v39, s[12:13] offset:272
	s_waitcnt lgkmcnt(0)
	v_mul_f32_e32 v41, v60, v38
	v_mul_f32_e32 v17, v90, v38
	v_fmac_f32_e32 v41, v90, v37
	v_fma_f32 v45, v60, v37, -v17
	global_load_dwordx2 v[37:38], v43, s[12:13] offset:272
	s_waitcnt vmcnt(10)
	v_mul_f32_e32 v17, v97, v63
	v_mul_f32_e32 v39, v42, v63
	v_fmac_f32_e32 v17, v42, v62
	v_fma_f32 v39, v97, v62, -v39
	ds_read2_b32 v[62:63], v53 offset0:80 offset1:224
	ds_read2_b32 v[52:53], v52 offset0:16 offset1:160
	v_mul_f32_e32 v43, v91, v65
	v_mul_f32_e32 v42, v61, v65
	v_fma_f32 v43, v61, v64, -v43
	s_waitcnt vmcnt(9) lgkmcnt(1)
	v_mul_f32_e32 v65, v62, v67
	v_mul_f32_e32 v60, v92, v67
	;; [unrolled: 1-line block ×3, first 2 shown]
	v_fmac_f32_e32 v65, v92, v66
	v_fma_f32 v66, v62, v66, -v60
	s_waitcnt lgkmcnt(0)
	v_mul_f32_e32 v60, v52, v69
	v_fma_f32 v61, v52, v68, -v61
	s_waitcnt vmcnt(8)
	v_mul_f32_e32 v67, v63, v71
	v_mul_f32_e32 v52, v93, v71
	;; [unrolled: 1-line block ×3, first 2 shown]
	v_fmac_f32_e32 v42, v91, v64
	v_fmac_f32_e32 v60, v94, v68
	;; [unrolled: 1-line block ×3, first 2 shown]
	v_fma_f32 v68, v63, v70, -v52
	v_mul_f32_e32 v52, v53, v73
	v_fma_f32 v53, v53, v72, -v62
	ds_read2_b32 v[62:63], v51 offset0:48 offset1:192
	ds_read_b32 v64, v46
	ds_read_b32 v51, v16
	;; [unrolled: 1-line block ×4, first 2 shown]
	ds_read_b32 v71, v26 offset:13248
	s_waitcnt vmcnt(7) lgkmcnt(4)
	v_mul_f32_e32 v90, v64, v75
	v_fmac_f32_e32 v90, v24, v74
	v_mul_f32_e32 v24, v24, v75
	v_fma_f32 v91, v64, v74, -v24
	v_mul_f32_e32 v24, v63, v77
	v_fmac_f32_e32 v24, v14, v76
	v_mul_f32_e32 v14, v14, v77
	v_fmac_f32_e32 v52, v95, v72
	v_fma_f32 v72, v63, v76, -v14
	ds_read2_b32 v[63:64], v50 offset0:48 offset1:192
	s_waitcnt vmcnt(6)
	v_mul_f32_e32 v50, v62, v79
	v_fmac_f32_e32 v50, v13, v78
	v_mul_f32_e32 v13, v13, v79
	v_fma_f32 v62, v62, v78, -v13
	ds_read2_b32 v[13:14], v49 offset0:48 offset1:192
	s_waitcnt lgkmcnt(1)
	v_mul_f32_e32 v92, v63, v81
	v_fmac_f32_e32 v92, v11, v80
	v_mul_f32_e32 v11, v11, v81
	v_fma_f32 v63, v63, v80, -v11
	s_waitcnt vmcnt(5)
	v_mul_f32_e32 v49, v64, v83
	v_mul_f32_e32 v11, v12, v83
	v_fmac_f32_e32 v49, v12, v82
	v_fma_f32 v12, v64, v82, -v11
	s_waitcnt lgkmcnt(0)
	v_mul_f32_e32 v64, v14, v85
	v_fmac_f32_e32 v64, v10, v84
	v_mul_f32_e32 v10, v10, v85
	v_fma_f32 v14, v14, v84, -v10
	ds_read2_b32 v[10:11], v47 offset0:48 offset1:192
	s_waitcnt vmcnt(4)
	v_mul_f32_e32 v47, v13, v87
	v_fmac_f32_e32 v47, v9, v86
	v_mul_f32_e32 v9, v9, v87
	v_fma_f32 v13, v13, v86, -v9
	s_waitcnt lgkmcnt(0)
	v_mul_f32_e32 v93, v10, v89
	v_fmac_f32_e32 v93, v7, v88
	v_mul_f32_e32 v7, v7, v89
	v_fma_f32 v88, v10, v88, -v7
	ds_read2_b32 v[9:10], v48 offset0:80 offset1:224
	s_waitcnt vmcnt(3)
	v_mul_f32_e32 v7, v11, v99
	v_fmac_f32_e32 v7, v8, v98
	v_mul_f32_e32 v8, v8, v99
	v_fma_f32 v8, v11, v98, -v8
	s_waitcnt vmcnt(2) lgkmcnt(0)
	v_mul_f32_e32 v11, v9, v101
	v_fmac_f32_e32 v11, v5, v100
	v_mul_f32_e32 v5, v5, v101
	v_fma_f32 v5, v9, v100, -v5
	ds_read_b32 v48, v26
	s_waitcnt vmcnt(0) lgkmcnt(0)
	s_barrier
	v_mul_f32_e32 v9, v10, v36
	v_fmac_f32_e32 v9, v6, v35
	v_mul_f32_e32 v6, v6, v36
	v_fma_f32 v6, v10, v35, -v6
	v_add_f32_e32 v35, v24, v64
	v_mul_f32_e32 v10, v71, v38
	v_fmac_f32_e32 v10, v23, v37
	v_mul_f32_e32 v23, v23, v38
	v_fma_f32 v71, v71, v37, -v23
	v_add_f32_e32 v23, v22, v24
	v_fmac_f32_e32 v22, -0.5, v35
	v_add_f32_e32 v35, v90, v49
	v_add_f32_e32 v36, v49, v7
	;; [unrolled: 1-line block ×3, first 2 shown]
	v_fmac_f32_e32 v90, -0.5, v36
	v_add_f32_e32 v36, v91, v12
	v_fmac_f32_e32 v91, -0.5, v37
	v_add_f32_e32 v35, v35, v7
	v_sub_f32_e32 v7, v49, v7
	v_mul_u32_u24_e32 v37, 0x360, v102
	v_sub_f32_e32 v12, v12, v8
	v_mov_b32_e32 v38, v90
	v_mov_b32_e32 v73, v91
	v_fmac_f32_e32 v91, 0xbf5db3d7, v7
	v_add3_u32 v49, 0, v37, v15
	v_add_f32_e32 v15, v23, v64
	v_sub_f32_e32 v23, v72, v14
	v_fmac_f32_e32 v38, 0xbf5db3d7, v12
	v_fmac_f32_e32 v73, 0x3f5db3d7, v7
	;; [unrolled: 1-line block ×3, first 2 shown]
	v_mul_f32_e32 v12, 0xbf5db3d7, v91
	v_mov_b32_e32 v37, v22
	v_mul_f32_e32 v74, 0xbf5db3d7, v73
	v_fmac_f32_e32 v22, 0x3f5db3d7, v23
	v_fmac_f32_e32 v12, -0.5, v90
	v_fmac_f32_e32 v37, 0xbf5db3d7, v23
	v_fmac_f32_e32 v74, 0.5, v38
	v_add_f32_e32 v75, v15, v35
	v_sub_f32_e32 v7, v15, v35
	v_add_f32_e32 v15, v22, v12
	ds_write2_b32 v49, v15, v7 offset0:72 offset1:108
	v_sub_f32_e32 v7, v37, v74
	v_sub_f32_e32 v12, v22, v12
	ds_write2_b32 v49, v7, v12 offset0:144 offset1:180
	v_add_f32_e32 v12, v41, v60
	v_add_f32_e32 v15, v65, v11
	;; [unrolled: 1-line block ×3, first 2 shown]
	v_fmac_f32_e32 v21, -0.5, v12
	v_add_f32_e32 v12, v29, v65
	v_fmac_f32_e32 v29, -0.5, v15
	v_add_f32_e32 v15, v66, v5
	v_add_f32_e32 v22, v31, v66
	v_fmac_f32_e32 v31, -0.5, v15
	v_add_f32_e32 v12, v12, v11
	v_sub_f32_e32 v11, v65, v11
	v_mul_u32_u24_e32 v15, 0x360, v28
	v_lshlrev_b32_e32 v23, 2, v30
	v_sub_f32_e32 v30, v66, v5
	v_mov_b32_e32 v66, v31
	v_fmac_f32_e32 v31, 0xbf5db3d7, v11
	v_add3_u32 v28, 0, v15, v23
	v_sub_f32_e32 v15, v45, v61
	v_mov_b32_e32 v65, v29
	v_fmac_f32_e32 v66, 0x3f5db3d7, v11
	v_fmac_f32_e32 v29, 0x3f5db3d7, v30
	v_mul_f32_e32 v11, 0xbf5db3d7, v31
	v_add_f32_e32 v7, v7, v60
	v_mov_b32_e32 v23, v21
	v_fmac_f32_e32 v65, 0xbf5db3d7, v30
	v_mul_f32_e32 v35, 0xbf5db3d7, v66
	v_fmac_f32_e32 v21, 0x3f5db3d7, v15
	v_fmac_f32_e32 v11, -0.5, v29
	v_add_f32_e32 v76, v37, v74
	v_fmac_f32_e32 v23, 0xbf5db3d7, v15
	v_fmac_f32_e32 v35, 0.5, v65
	v_add_f32_e32 v37, v7, v12
	v_sub_f32_e32 v7, v7, v12
	v_add_f32_e32 v12, v21, v11
	ds_write2_b32 v49, v75, v76 offset1:36
	ds_write2_b32 v28, v12, v7 offset0:72 offset1:108
	v_sub_f32_e32 v7, v23, v35
	v_sub_f32_e32 v11, v21, v11
	ds_write2_b32 v28, v7, v11 offset0:144 offset1:180
	v_add_f32_e32 v11, v42, v52
	v_add_f32_e32 v12, v67, v9
	;; [unrolled: 1-line block ×3, first 2 shown]
	v_fmac_f32_e32 v20, -0.5, v11
	v_add_f32_e32 v11, v17, v67
	v_fmac_f32_e32 v17, -0.5, v12
	v_add_f32_e32 v12, v68, v6
	v_add_f32_e32 v21, v39, v68
	v_fmac_f32_e32 v39, -0.5, v12
	v_add_f32_e32 v11, v11, v9
	v_sub_f32_e32 v9, v67, v9
	v_add_f32_e32 v74, v23, v35
	v_mul_u32_u24_e32 v12, 0x360, v25
	v_lshlrev_b32_e32 v15, 2, v27
	v_sub_f32_e32 v23, v68, v6
	v_mov_b32_e32 v30, v39
	v_fmac_f32_e32 v39, 0xbf5db3d7, v9
	v_add3_u32 v25, 0, v12, v15
	v_sub_f32_e32 v12, v43, v53
	v_mov_b32_e32 v27, v17
	v_fmac_f32_e32 v30, 0x3f5db3d7, v9
	v_fmac_f32_e32 v17, 0x3f5db3d7, v23
	v_mul_f32_e32 v9, 0xbf5db3d7, v39
	v_add_f32_e32 v7, v7, v52
	v_mov_b32_e32 v15, v20
	v_fmac_f32_e32 v27, 0xbf5db3d7, v23
	v_mul_f32_e32 v35, 0xbf5db3d7, v30
	v_fmac_f32_e32 v20, 0x3f5db3d7, v12
	v_fmac_f32_e32 v9, -0.5, v17
	ds_write2_b32 v28, v37, v74 offset1:36
	v_fmac_f32_e32 v15, 0xbf5db3d7, v12
	v_fmac_f32_e32 v35, 0.5, v27
	v_add_f32_e32 v37, v7, v11
	v_sub_f32_e32 v7, v7, v11
	v_add_f32_e32 v11, v20, v9
	ds_write2_b32 v25, v11, v7 offset0:72 offset1:108
	v_sub_f32_e32 v7, v15, v35
	v_sub_f32_e32 v9, v20, v9
	ds_write2_b32 v25, v7, v9 offset0:144 offset1:180
	v_add_f32_e32 v9, v92, v93
	v_add_f32_e32 v7, v19, v92
	v_fmac_f32_e32 v19, -0.5, v9
	v_add_f32_e32 v9, v50, v47
	v_add_f32_e32 v11, v47, v10
	;; [unrolled: 1-line block ×4, first 2 shown]
	v_fmac_f32_e32 v50, -0.5, v11
	v_add_f32_e32 v11, v62, v13
	v_fmac_f32_e32 v62, -0.5, v12
	v_add_f32_e32 v9, v9, v10
	v_sub_f32_e32 v10, v47, v10
	ds_write2_b32 v25, v37, v67 offset1:36
	v_mul_u32_u24_e32 v12, 0x360, v33
	v_lshlrev_b32_e32 v15, 2, v34
	v_add_f32_e32 v7, v7, v93
	v_sub_f32_e32 v13, v13, v71
	v_mov_b32_e32 v67, v62
	v_fmac_f32_e32 v62, 0xbf5db3d7, v10
	v_add3_u32 v20, 0, v12, v15
	v_sub_f32_e32 v12, v63, v88
	v_mov_b32_e32 v47, v50
	v_fmac_f32_e32 v67, 0x3f5db3d7, v10
	v_add_f32_e32 v33, v7, v9
	v_fmac_f32_e32 v50, 0x3f5db3d7, v13
	v_sub_f32_e32 v7, v7, v9
	v_mul_f32_e32 v9, 0xbf5db3d7, v62
	v_mov_b32_e32 v15, v19
	v_fmac_f32_e32 v47, 0xbf5db3d7, v13
	v_mul_f32_e32 v23, 0xbf5db3d7, v67
	v_fmac_f32_e32 v19, 0x3f5db3d7, v12
	v_fmac_f32_e32 v9, -0.5, v50
	v_fmac_f32_e32 v15, 0xbf5db3d7, v12
	v_fmac_f32_e32 v23, 0.5, v47
	v_add_f32_e32 v10, v19, v9
	ds_write2_b32 v20, v10, v7 offset0:72 offset1:108
	v_sub_f32_e32 v7, v15, v23
	v_sub_f32_e32 v9, v19, v9
	ds_write2_b32 v20, v7, v9 offset0:144 offset1:180
	v_add_f32_e32 v7, v48, v72
	v_add_f32_e32 v19, v7, v14
	;; [unrolled: 1-line block ×3, first 2 shown]
	v_fmac_f32_e32 v48, -0.5, v7
	v_sub_f32_e32 v64, v24, v64
	v_mov_b32_e32 v89, v48
	v_fmac_f32_e32 v89, 0x3f5db3d7, v64
	v_fmac_f32_e32 v48, 0xbf5db3d7, v64
	v_mul_f32_e32 v64, -0.5, v91
	v_add_f32_e32 v68, v36, v8
	v_mul_f32_e32 v94, 0.5, v73
	v_fmac_f32_e32 v64, 0x3f5db3d7, v90
	v_add_f32_e32 v34, v15, v23
	v_fmac_f32_e32 v94, 0x3f5db3d7, v38
	v_add_f32_e32 v95, v19, v68
	v_sub_f32_e32 v19, v19, v68
	v_add_f32_e32 v68, v48, v64
	ds_write2_b32 v20, v33, v34 offset1:36
	s_waitcnt lgkmcnt(0)
	s_barrier
	v_add_u32_e32 v33, 0xc00, v26
	v_add_u32_e32 v35, 0x1a00, v26
	;; [unrolled: 1-line block ×6, first 2 shown]
	ds_read_b32 v14, v18
	ds_read_b32 v100, v26
	;; [unrolled: 1-line block ×3, first 2 shown]
	v_add_u32_e32 v8, 0x1600, v26
	v_add_u32_e32 v9, 0x2400, v26
	;; [unrolled: 1-line block ×3, first 2 shown]
	v_lshl_add_u32 v7, v58, 2, 0
	ds_read_b32 v15, v32
	ds_read_b32 v101, v16
	;; [unrolled: 1-line block ×3, first 2 shown]
	ds_read2_b32 v[23:24], v33 offset0:96 offset1:240
	ds_read2_b32 v[72:73], v35 offset0:64 offset1:208
	ds_read2_b32 v[74:75], v34 offset0:32 offset1:176
	ds_read2_b32 v[76:77], v37 offset1:144
	ds_read2_b32 v[78:79], v38 offset0:96 offset1:240
	ds_read2_b32 v[80:81], v36 offset0:64 offset1:208
	;; [unrolled: 1-line block ×3, first 2 shown]
	ds_read2_b32 v[84:85], v9 offset1:144
	ds_read2_b32 v[86:87], v10 offset0:96 offset1:240
	s_waitcnt lgkmcnt(0)
	s_barrier
	ds_write2_b32 v49, v68, v19 offset0:72 offset1:108
	v_sub_f32_e32 v19, v89, v94
	v_sub_f32_e32 v48, v48, v64
	ds_write2_b32 v49, v19, v48 offset0:144 offset1:180
	v_add_f32_e32 v19, v51, v45
	v_add_f32_e32 v45, v45, v61
	v_fmac_f32_e32 v51, -0.5, v45
	v_sub_f32_e32 v41, v41, v60
	v_mul_f32_e32 v31, -0.5, v31
	v_add_f32_e32 v19, v19, v61
	v_add_f32_e32 v5, v22, v5
	v_mul_f32_e32 v22, 0.5, v66
	v_mov_b32_e32 v45, v51
	v_fmac_f32_e32 v51, 0xbf5db3d7, v41
	v_fmac_f32_e32 v31, 0x3f5db3d7, v29
	v_add_f32_e32 v96, v89, v94
	v_fmac_f32_e32 v22, 0x3f5db3d7, v65
	v_fmac_f32_e32 v45, 0x3f5db3d7, v41
	v_add_f32_e32 v48, v19, v5
	v_sub_f32_e32 v5, v19, v5
	v_add_f32_e32 v19, v51, v31
	ds_write2_b32 v49, v95, v96 offset1:36
	ds_write2_b32 v28, v19, v5 offset0:72 offset1:108
	v_sub_f32_e32 v5, v45, v22
	v_sub_f32_e32 v19, v51, v31
	ds_write2_b32 v28, v5, v19 offset0:144 offset1:180
	v_add_f32_e32 v19, v43, v53
	v_add_f32_e32 v5, v69, v43
	v_fmac_f32_e32 v69, -0.5, v19
	v_add_f32_e32 v49, v45, v22
	v_sub_f32_e32 v19, v42, v52
	v_add_f32_e32 v6, v21, v6
	v_mul_f32_e32 v21, 0.5, v30
	v_mov_b32_e32 v22, v69
	v_add_f32_e32 v5, v5, v53
	v_fmac_f32_e32 v21, 0x3f5db3d7, v27
	v_fmac_f32_e32 v22, 0x3f5db3d7, v19
	ds_write2_b32 v28, v48, v49 offset1:36
	v_add_f32_e32 v27, v5, v6
	v_add_f32_e32 v28, v22, v21
	v_sub_f32_e32 v5, v5, v6
	v_sub_f32_e32 v6, v22, v21
	v_add_f32_e32 v22, v63, v88
	v_add_f32_e32 v21, v70, v63
	v_fmac_f32_e32 v70, -0.5, v22
	ds_write2_b32 v25, v27, v28 offset1:36
	v_fmac_f32_e32 v69, 0xbf5db3d7, v19
	v_mul_f32_e32 v19, -0.5, v39
	v_sub_f32_e32 v22, v92, v93
	v_mov_b32_e32 v27, v70
	v_fmac_f32_e32 v19, 0x3f5db3d7, v17
	v_fmac_f32_e32 v27, 0x3f5db3d7, v22
	v_fmac_f32_e32 v70, 0xbf5db3d7, v22
	v_mul_f32_e32 v22, 0.5, v67
	v_mul_f32_e32 v28, -0.5, v62
	v_add_f32_e32 v17, v69, v19
	v_add_f32_e32 v21, v21, v88
	;; [unrolled: 1-line block ×3, first 2 shown]
	v_fmac_f32_e32 v22, 0x3f5db3d7, v47
	v_fmac_f32_e32 v28, 0x3f5db3d7, v50
	v_sub_f32_e32 v19, v69, v19
	v_add_f32_e32 v29, v21, v11
	v_sub_f32_e32 v11, v21, v11
	v_add_f32_e32 v21, v27, v22
	v_sub_f32_e32 v22, v27, v22
	v_add_f32_e32 v27, v70, v28
	v_sub_f32_e32 v28, v70, v28
	ds_write2_b32 v25, v17, v5 offset0:72 offset1:108
	ds_write2_b32 v25, v6, v19 offset0:144 offset1:180
	ds_write2_b32 v20, v29, v21 offset1:36
	ds_write2_b32 v20, v27, v11 offset0:72 offset1:108
	ds_write2_b32 v20, v22, v28 offset0:144 offset1:180
	v_mul_u32_u24_e32 v5, 3, v54
	v_lshlrev_b32_e32 v11, 3, v5
	v_add_u32_e32 v5, 0xffffffb8, v54
	v_cndmask_b32_e64 v17, v5, v55, s[0:1]
	v_mov_b32_e32 v6, 0
	v_mul_i32_i24_e32 v5, 3, v17
	v_lshlrev_b64 v[27:28], 3, v[5:6]
	s_waitcnt lgkmcnt(0)
	s_barrier
	global_load_dwordx4 v[19:22], v11, s[12:13] offset:1680
	v_mov_b32_e32 v25, s13
	v_add_co_u32_e64 v41, s[0:1], s12, v27
	v_addc_co_u32_e64 v42, s[0:1], v25, v28, s[0:1]
	global_load_dwordx4 v[27:30], v[41:42], off offset:1680
	global_load_dwordx4 v[47:50], v11, s[12:13] offset:3408
	v_lshrrev_b16_e32 v5, 3, v59
	v_mul_u32_u24_e32 v5, 0x12f7, v5
	v_lshrrev_b32_e32 v5, 17, v5
	v_mul_lo_u16_e32 v5, 0xd8, v5
	v_sub_u16_e32 v5, v59, v5
	v_mul_u32_u24_e32 v25, 3, v5
	v_lshrrev_b16_e32 v31, 3, v57
	v_lshlrev_b32_e32 v25, 3, v25
	v_mul_u32_u24_e32 v31, 0x12f7, v31
	global_load_dwordx4 v[60:63], v25, s[12:13] offset:1680
	v_lshrrev_b32_e32 v31, 17, v31
	v_mul_lo_u16_e32 v39, 0xd8, v31
	v_sub_u16_e32 v39, v57, v39
	v_mul_u32_u24_e32 v43, 3, v39
	v_lshlrev_b32_e32 v43, 3, v43
	global_load_dwordx4 v[64:67], v43, s[12:13] offset:1680
	v_lshrrev_b16_e32 v45, 3, v58
	v_mul_u32_u24_e32 v45, 0x12f7, v45
	v_lshrrev_b32_e32 v45, 17, v45
	v_mul_lo_u16_e32 v45, 0xd8, v45
	v_sub_u16_e32 v45, v58, v45
	v_mul_u32_u24_e32 v51, 3, v45
	v_lshlrev_b32_e32 v53, 3, v51
	global_load_dwordx4 v[68:71], v53, s[12:13] offset:1680
	global_load_dwordx2 v[51:52], v11, s[12:13] offset:1696
	global_load_dwordx2 v[88:89], v[41:42], off offset:1696
	global_load_dwordx2 v[90:91], v11, s[12:13] offset:3424
	global_load_dwordx2 v[92:93], v25, s[12:13] offset:1696
	;; [unrolled: 1-line block ×4, first 2 shown]
	ds_read2_b32 v[41:42], v33 offset0:96 offset1:240
	ds_read2_b32 v[98:99], v35 offset0:64 offset1:208
	s_movk_i32 s0, 0x47
	v_cmp_lt_u32_e64 s[0:1], s0, v54
	v_lshlrev_b32_e32 v17, 2, v17
	v_lshl_add_u32 v5, v5, 2, 0
	s_waitcnt vmcnt(11) lgkmcnt(1)
	v_mul_f32_e32 v25, v41, v20
	v_mul_f32_e32 v20, v23, v20
	v_fmac_f32_e32 v25, v23, v19
	v_fma_f32 v23, v41, v19, -v20
	v_mul_f32_e32 v19, v72, v22
	s_waitcnt lgkmcnt(0)
	v_mul_f32_e32 v41, v98, v22
	v_fma_f32 v43, v98, v21, -v19
	s_waitcnt vmcnt(10)
	v_mul_f32_e32 v19, v24, v28
	v_fmac_f32_e32 v41, v72, v21
	v_mul_f32_e32 v53, v42, v28
	v_fma_f32 v72, v42, v27, -v19
	ds_read2_b32 v[19:20], v37 offset1:144
	v_fmac_f32_e32 v53, v24, v27
	v_mul_f32_e32 v24, v99, v30
	v_mul_f32_e32 v21, v73, v30
	v_fmac_f32_e32 v24, v73, v29
	v_fma_f32 v73, v99, v29, -v21
	ds_read2_b32 v[21:22], v38 offset0:96 offset1:240
	s_waitcnt vmcnt(9) lgkmcnt(1)
	v_mul_f32_e32 v27, v19, v48
	v_mul_f32_e32 v28, v76, v48
	v_fmac_f32_e32 v27, v76, v47
	v_fma_f32 v47, v19, v47, -v28
	v_mul_f32_e32 v19, v78, v50
	s_waitcnt lgkmcnt(0)
	v_mul_f32_e32 v28, v21, v50
	v_fma_f32 v48, v21, v49, -v19
	s_waitcnt vmcnt(8)
	v_mul_f32_e32 v19, v77, v61
	v_fmac_f32_e32 v28, v78, v49
	v_mul_f32_e32 v29, v20, v61
	v_fma_f32 v49, v20, v60, -v19
	ds_read2_b32 v[19:20], v8 offset0:32 offset1:176
	v_mul_f32_e32 v21, v79, v63
	v_mul_f32_e32 v30, v22, v63
	v_fma_f32 v50, v22, v62, -v21
	ds_read2_b32 v[21:22], v9 offset1:144
	v_fmac_f32_e32 v29, v77, v60
	s_waitcnt vmcnt(7)
	v_mul_f32_e32 v60, v82, v65
	s_waitcnt lgkmcnt(1)
	v_mul_f32_e32 v42, v19, v65
	v_fma_f32 v60, v19, v64, -v60
	v_mul_f32_e32 v19, v84, v67
	v_fmac_f32_e32 v30, v79, v62
	s_waitcnt lgkmcnt(0)
	v_fma_f32 v62, v21, v66, -v19
	s_waitcnt vmcnt(6)
	v_mul_f32_e32 v19, v83, v69
	v_fmac_f32_e32 v42, v82, v64
	v_mul_f32_e32 v63, v20, v69
	v_fma_f32 v64, v20, v68, -v19
	ds_read2_b32 v[19:20], v34 offset0:32 offset1:176
	v_mul_f32_e32 v61, v21, v67
	v_mul_f32_e32 v21, v85, v71
	v_fmac_f32_e32 v61, v84, v66
	v_fma_f32 v66, v22, v70, -v21
	s_waitcnt vmcnt(5) lgkmcnt(0)
	v_mul_f32_e32 v67, v19, v52
	v_mul_f32_e32 v21, v74, v52
	;; [unrolled: 1-line block ×3, first 2 shown]
	v_fmac_f32_e32 v67, v74, v51
	v_fma_f32 v51, v19, v51, -v21
	ds_read2_b32 v[21:22], v36 offset0:64 offset1:208
	s_waitcnt vmcnt(4)
	v_mul_f32_e32 v19, v75, v89
	v_fmac_f32_e32 v63, v83, v68
	v_fma_f32 v68, v20, v88, -v19
	s_waitcnt vmcnt(3)
	v_mul_f32_e32 v19, v80, v91
	v_mul_f32_e32 v52, v20, v89
	s_waitcnt lgkmcnt(0)
	v_mul_f32_e32 v69, v21, v91
	v_fma_f32 v21, v21, v90, -v19
	ds_read2_b32 v[19:20], v10 offset0:96 offset1:240
	v_fmac_f32_e32 v52, v75, v88
	s_waitcnt vmcnt(2)
	v_mul_f32_e32 v71, v81, v93
	s_waitcnt vmcnt(1)
	v_mul_f32_e32 v74, v86, v95
	;; [unrolled: 2-line block ×3, first 2 shown]
	v_sub_f32_e32 v41, v100, v41
	v_sub_f32_e32 v67, v25, v67
	v_fmac_f32_e32 v65, v85, v70
	v_mul_f32_e32 v70, v22, v93
	v_fma_f32 v22, v22, v92, -v71
	s_waitcnt lgkmcnt(0)
	v_mul_f32_e32 v71, v19, v95
	v_fma_f32 v19, v19, v94, -v74
	v_mul_f32_e32 v74, v20, v97
	v_fma_f32 v20, v20, v96, -v75
	v_fma_f32 v75, v100, 2.0, -v41
	v_sub_f32_e32 v51, v23, v51
	v_fma_f32 v25, v25, 2.0, -v67
	v_sub_f32_e32 v25, v75, v25
	v_add_f32_e32 v76, v41, v51
	v_fma_f32 v75, v75, 2.0, -v25
	v_fma_f32 v41, v41, 2.0, -v76
	v_fmac_f32_e32 v69, v80, v90
	v_fmac_f32_e32 v70, v81, v92
	ds_read_b32 v77, v18
	ds_read_b32 v78, v26
	;; [unrolled: 1-line block ×6, first 2 shown]
	s_waitcnt lgkmcnt(0)
	s_barrier
	ds_write2_b32 v26, v75, v41 offset1:216
	v_add_u32_e32 v75, 0x680, v26
	ds_write2_b32 v75, v25, v76 offset0:16 offset1:232
	v_mov_b32_e32 v25, 0xd80
	v_cndmask_b32_e64 v25, 0, v25, s[0:1]
	v_add3_u32 v76, 0, v25, v17
	v_sub_f32_e32 v17, v101, v24
	v_sub_f32_e32 v52, v53, v52
	v_fma_f32 v24, v101, 2.0, -v17
	v_sub_f32_e32 v68, v72, v68
	v_fma_f32 v25, v53, 2.0, -v52
	v_sub_f32_e32 v25, v24, v25
	v_add_f32_e32 v41, v17, v68
	v_fma_f32 v24, v24, 2.0, -v25
	v_fma_f32 v17, v17, 2.0, -v41
	ds_write2_b32 v76, v24, v17 offset1:216
	v_sub_f32_e32 v17, v15, v28
	v_sub_f32_e32 v69, v27, v69
	v_add_u32_e32 v53, 0x680, v76
	v_fma_f32 v15, v15, 2.0, -v17
	v_sub_f32_e32 v83, v47, v21
	v_fma_f32 v21, v27, 2.0, -v69
	ds_write2_b32 v53, v25, v41 offset0:16 offset1:232
	v_sub_f32_e32 v21, v15, v21
	v_add_f32_e32 v24, v17, v83
	v_lshl_add_u32 v25, v54, 2, 0
	v_fma_f32 v15, v15, 2.0, -v21
	v_fma_f32 v17, v17, 2.0, -v24
	v_add_u32_e32 v84, 0xe80, v25
	ds_write2_b32 v84, v15, v17 offset0:8 offset1:224
	v_sub_f32_e32 v15, v14, v30
	v_sub_f32_e32 v70, v29, v70
	v_fmac_f32_e32 v71, v86, v94
	v_add_u32_e32 v85, 0x1500, v25
	v_fma_f32 v14, v14, 2.0, -v15
	v_sub_f32_e32 v86, v49, v22
	v_fma_f32 v17, v29, 2.0, -v70
	ds_write2_b32 v85, v21, v24 offset0:24 offset1:240
	v_sub_f32_e32 v17, v14, v17
	v_add_f32_e32 v21, v15, v86
	v_fmac_f32_e32 v74, v87, v96
	v_fma_f32 v14, v14, 2.0, -v17
	v_fma_f32 v15, v15, 2.0, -v21
	v_add_u32_e32 v87, 0x1b00, v5
	ds_write2_b32 v87, v14, v15 offset1:216
	v_mul_u32_u24_e32 v14, 0xd80, v31
	v_lshlrev_b32_e32 v15, 2, v39
	v_add3_u32 v88, 0, v14, v15
	v_sub_f32_e32 v14, v13, v61
	v_sub_f32_e32 v61, v42, v71
	v_add_u32_e32 v5, 0x2180, v5
	v_fma_f32 v13, v13, 2.0, -v14
	v_sub_f32_e32 v71, v60, v19
	v_fma_f32 v15, v42, 2.0, -v61
	ds_write2_b32 v5, v17, v21 offset0:16 offset1:232
	v_sub_f32_e32 v15, v13, v15
	v_add_f32_e32 v17, v14, v71
	v_fma_f32 v13, v13, 2.0, -v15
	v_fma_f32 v14, v14, 2.0, -v17
	ds_write2_b32 v88, v13, v14 offset1:216
	v_sub_f32_e32 v13, v12, v65
	v_sub_f32_e32 v65, v63, v74
	v_add_u32_e32 v89, 0x680, v88
	v_fma_f32 v12, v12, 2.0, -v13
	v_sub_f32_e32 v74, v64, v20
	v_fma_f32 v14, v63, 2.0, -v65
	ds_write2_b32 v89, v15, v17 offset0:16 offset1:232
	v_sub_f32_e32 v14, v12, v14
	v_add_f32_e32 v15, v13, v74
	v_lshl_add_u32 v17, v45, 2, 0
	v_fma_f32 v12, v12, 2.0, -v14
	v_fma_f32 v13, v13, 2.0, -v15
	v_add_u32_e32 v63, 0x2800, v17
	ds_write2_b32 v63, v12, v13 offset0:32 offset1:248
	v_fma_f32 v13, v23, 2.0, -v51
	v_sub_f32_e32 v51, v78, v43
	v_add_u32_e32 v12, 0x2f00, v17
	v_fma_f32 v78, v78, 2.0, -v51
	ds_write2_b32 v12, v14, v15 offset0:16 offset1:232
	v_sub_f32_e32 v90, v78, v13
	s_waitcnt lgkmcnt(0)
	s_barrier
	ds_read_b32 v42, v32
	ds_read_b32 v43, v18
	;; [unrolled: 1-line block ×6, first 2 shown]
	ds_read2_b32 v[15:16], v33 offset0:96 offset1:240
	ds_read2_b32 v[19:20], v35 offset0:64 offset1:208
	ds_read2_b32 v[17:18], v34 offset0:32 offset1:176
	ds_read2_b32 v[27:28], v37 offset1:144
	ds_read2_b32 v[31:32], v38 offset0:96 offset1:240
	ds_read2_b32 v[29:30], v36 offset0:64 offset1:208
	;; [unrolled: 1-line block ×3, first 2 shown]
	ds_read2_b32 v[23:24], v9 offset1:144
	ds_read2_b32 v[13:14], v10 offset0:96 offset1:240
	v_sub_f32_e32 v67, v51, v67
	s_waitcnt lgkmcnt(0)
	s_barrier
	ds_write2_b32 v75, v90, v67 offset0:16 offset1:232
	v_fma_f32 v75, v78, 2.0, -v90
	v_fma_f32 v51, v51, 2.0, -v67
	v_sub_f32_e32 v67, v81, v73
	ds_write2_b32 v26, v75, v51 offset1:216
	v_fma_f32 v51, v72, 2.0, -v68
	v_fma_f32 v68, v81, 2.0, -v67
	v_sub_f32_e32 v51, v68, v51
	v_sub_f32_e32 v52, v67, v52
	v_fma_f32 v68, v68, 2.0, -v51
	v_fma_f32 v67, v67, 2.0, -v52
	v_sub_f32_e32 v48, v80, v48
	ds_write2_b32 v76, v68, v67 offset1:216
	ds_write2_b32 v53, v51, v52 offset0:16 offset1:232
	v_fma_f32 v47, v47, 2.0, -v83
	v_fma_f32 v51, v80, 2.0, -v48
	v_sub_f32_e32 v47, v51, v47
	v_sub_f32_e32 v52, v48, v69
	v_fma_f32 v51, v51, 2.0, -v47
	v_fma_f32 v48, v48, 2.0, -v52
	ds_write2_b32 v84, v51, v48 offset0:8 offset1:224
	ds_write2_b32 v85, v47, v52 offset0:24 offset1:240
	v_sub_f32_e32 v48, v77, v50
	v_fma_f32 v47, v49, 2.0, -v86
	v_fma_f32 v49, v77, 2.0, -v48
	v_sub_f32_e32 v47, v49, v47
	v_sub_f32_e32 v50, v48, v70
	v_fma_f32 v49, v49, 2.0, -v47
	v_fma_f32 v48, v48, 2.0, -v50
	ds_write2_b32 v87, v49, v48 offset1:216
	ds_write2_b32 v5, v47, v50 offset0:16 offset1:232
	v_sub_f32_e32 v48, v79, v62
	v_fma_f32 v5, v60, 2.0, -v71
	v_fma_f32 v49, v79, 2.0, -v48
	v_sub_f32_e32 v51, v82, v66
	v_fma_f32 v47, v64, 2.0, -v74
	v_sub_f32_e32 v5, v49, v5
	v_sub_f32_e32 v50, v48, v61
	v_fma_f32 v52, v82, 2.0, -v51
	v_fma_f32 v49, v49, 2.0, -v5
	;; [unrolled: 1-line block ×3, first 2 shown]
	v_sub_f32_e32 v47, v52, v47
	v_sub_f32_e32 v53, v51, v65
	s_movk_i32 s0, 0xd80
	v_fma_f32 v52, v52, 2.0, -v47
	v_fma_f32 v51, v51, 2.0, -v53
	ds_write2_b32 v88, v49, v48 offset1:216
	ds_write2_b32 v89, v5, v50 offset0:16 offset1:232
	ds_write2_b32 v63, v52, v51 offset0:32 offset1:248
	;; [unrolled: 1-line block ×3, first 2 shown]
	s_waitcnt lgkmcnt(0)
	s_barrier
	s_and_saveexec_b64 s[6:7], vcc
	s_cbranch_execz .LBB0_15
; %bb.14:
	v_mul_i32_i24_e32 v5, 3, v58
	v_lshlrev_b64 v[47:48], 3, v[5:6]
	v_mov_b32_e32 v53, s13
	v_add_co_u32_e32 v5, vcc, s12, v47
	v_addc_co_u32_e32 v12, vcc, v53, v48, vcc
	s_movk_i32 s6, 0x1000
	v_add_co_u32_e32 v47, vcc, s6, v5
	s_movk_i32 s1, 0x1ad0
	v_addc_co_u32_e32 v48, vcc, 0, v12, vcc
	v_add_co_u32_e32 v51, vcc, s1, v5
	v_mul_i32_i24_e32 v5, 3, v57
	v_addc_co_u32_e32 v52, vcc, 0, v12, vcc
	v_lshlrev_b64 v[57:58], 3, v[5:6]
	global_load_dwordx4 v[47:50], v[47:48], off offset:2768
	v_add_co_u32_e32 v5, vcc, s12, v57
	global_load_dwordx2 v[51:52], v[51:52], off offset:16
	v_addc_co_u32_e32 v12, vcc, v53, v58, vcc
	v_add_co_u32_e32 v57, vcc, s6, v5
	v_addc_co_u32_e32 v58, vcc, 0, v12, vcc
	global_load_dwordx4 v[60:63], v[57:58], off offset:2768
	v_add_co_u32_e32 v57, vcc, s1, v5
	v_addc_co_u32_e32 v58, vcc, 0, v12, vcc
	global_load_dwordx2 v[57:58], v[57:58], off offset:16
	v_mul_i32_i24_e32 v5, 3, v59
	v_mul_lo_u32 v12, s5, v3
	v_mul_lo_u32 v64, s4, v4
	v_mad_u64_u32 v[68:69], s[4:5], s4, v3, 0
	v_add_co_u32_e32 v81, vcc, s12, v11
	v_lshlrev_b64 v[3:4], 3, v[5:6]
	v_addc_co_u32_e32 v82, vcc, 0, v53, vcc
	v_add_co_u32_e32 v5, vcc, s12, v3
	ds_read2_b32 v[70:71], v9 offset1:144
	ds_read2_b32 v[72:73], v8 offset0:32 offset1:176
	ds_read2_b32 v[74:75], v10 offset0:96 offset1:240
	v_addc_co_u32_e32 v9, vcc, v53, v4, vcc
	v_add_co_u32_e32 v3, vcc, s1, v5
	v_addc_co_u32_e32 v4, vcc, 0, v9, vcc
	v_add_co_u32_e32 v8, vcc, s6, v5
	v_addc_co_u32_e32 v9, vcc, 0, v9, vcc
	v_add3_u32 v69, v69, v64, v12
	global_load_dwordx4 v[64:67], v[8:9], off offset:2768
	global_load_dwordx2 v[76:77], v[3:4], off offset:16
	ds_read_b32 v7, v7
	v_mul_i32_i24_e32 v80, 0xffffffec, v59
	v_mul_i32_i24_e32 v78, 0xffffffec, v55
	;; [unrolled: 1-line block ×3, first 2 shown]
	v_add_u32_e32 v0, v0, v78
	s_waitcnt vmcnt(5)
	v_mul_f32_e32 v3, v24, v50
	s_waitcnt lgkmcnt(2)
	v_mul_f32_e32 v5, v48, v73
	v_mul_f32_e32 v8, v71, v50
	s_waitcnt vmcnt(4) lgkmcnt(1)
	v_mul_f32_e32 v4, v52, v75
	v_mul_f32_e32 v9, v22, v48
	;; [unrolled: 1-line block ×3, first 2 shown]
	v_fma_f32 v3, v49, v71, -v3
	v_fmac_f32_e32 v5, v22, v47
	v_fmac_f32_e32 v4, v14, v51
	;; [unrolled: 1-line block ×3, first 2 shown]
	v_fma_f32 v9, v47, v73, -v9
	ds_read_b32 v73, v26
	v_fma_f32 v10, v51, v75, -v10
	ds_read_b32 v49, v46
	s_waitcnt lgkmcnt(2)
	v_sub_f32_e32 v11, v7, v3
	v_sub_f32_e32 v14, v5, v4
	;; [unrolled: 1-line block ×5, first 2 shown]
	v_add_f32_e32 v3, v22, v8
	v_fma_f32 v7, v7, 2.0, -v11
	v_fma_f32 v8, v9, 2.0, -v8
	;; [unrolled: 1-line block ×3, first 2 shown]
	v_sub_f32_e32 v8, v7, v8
	v_fma_f32 v11, v45, 2.0, -v22
	v_fma_f32 v5, v5, 2.0, -v14
	;; [unrolled: 1-line block ×3, first 2 shown]
	v_sub_f32_e32 v7, v11, v5
	s_waitcnt vmcnt(3)
	v_mul_f32_e32 v5, v23, v63
	v_fma_f32 v5, v62, v70, -v5
	s_waitcnt lgkmcnt(0)
	v_sub_f32_e32 v26, v49, v5
	v_mul_f32_e32 v50, v61, v72
	s_waitcnt vmcnt(2)
	v_mul_f32_e32 v5, v58, v74
	v_fmac_f32_e32 v50, v21, v60
	v_fmac_f32_e32 v5, v13, v57
	v_sub_f32_e32 v51, v50, v5
	v_mul_f32_e32 v5, v70, v63
	v_fmac_f32_e32 v5, v23, v62
	v_sub_f32_e32 v52, v25, v5
	v_mul_f32_e32 v5, v21, v61
	v_fma_f32 v61, v60, v72, -v5
	v_mul_i32_i24_e32 v5, 3, v56
	v_fma_f32 v9, v22, 2.0, -v3
	v_lshlrev_b64 v[21:22], 3, v[5:6]
	v_sub_f32_e32 v14, v26, v51
	v_add_co_u32_e32 v5, vcc, s12, v21
	v_addc_co_u32_e32 v23, vcc, v53, v22, vcc
	v_add_co_u32_e32 v21, vcc, s6, v5
	v_addc_co_u32_e32 v22, vcc, 0, v23, vcc
	global_load_dwordx4 v[45:48], v[21:22], off offset:2768
	v_add_co_u32_e32 v21, vcc, s1, v5
	v_mul_f32_e32 v5, v13, v58
	v_fma_f32 v5, v57, v74, -v5
	v_addc_co_u32_e32 v22, vcc, 0, v23, vcc
	v_sub_f32_e32 v5, v61, v5
	global_load_dwordx2 v[59:60], v[21:22], off offset:16
	v_add_f32_e32 v13, v52, v5
	v_fma_f32 v21, v49, 2.0, -v26
	v_fma_f32 v5, v61, 2.0, -v5
	v_sub_f32_e32 v22, v21, v5
	v_fma_f32 v24, v26, 2.0, -v14
	v_fma_f32 v26, v21, 2.0, -v22
	;; [unrolled: 1-line block ×4, first 2 shown]
	v_sub_f32_e32 v21, v5, v21
	v_fma_f32 v25, v5, 2.0, -v21
	v_add_u32_e32 v5, v44, v80
	ds_read_b32 v44, v5
	ds_read2_b32 v[61:62], v38 offset0:96 offset1:240
	v_mul_i32_i24_e32 v5, 3, v55
	v_lshlrev_b64 v[5:6], 3, v[5:6]
	v_fma_f32 v23, v52, 2.0, -v13
	v_add_co_u32_e32 v38, vcc, s12, v5
	v_addc_co_u32_e32 v53, vcc, v53, v6, vcc
	v_add_co_u32_e32 v5, vcc, s6, v38
	v_addc_co_u32_e32 v6, vcc, 0, v53, vcc
	global_load_dwordx4 v[49:52], v[5:6], off offset:2768
	ds_read2_b32 v[5:6], v37 offset1:144
	ds_read2_b32 v[70:71], v36 offset0:64 offset1:208
	v_add_co_u32_e32 v37, vcc, s1, v38
	v_addc_co_u32_e32 v38, vcc, 0, v53, vcc
	s_waitcnt vmcnt(4)
	v_mul_f32_e32 v53, v32, v67
	s_waitcnt lgkmcnt(2)
	v_fma_f32 v36, v66, v62, -v53
	s_waitcnt lgkmcnt(1)
	v_mul_f32_e32 v53, v65, v6
	s_waitcnt vmcnt(3) lgkmcnt(0)
	v_mul_f32_e32 v55, v77, v71
	global_load_dwordx2 v[37:38], v[37:38], off offset:16
	v_fmac_f32_e32 v53, v28, v64
	v_fmac_f32_e32 v55, v30, v76
	v_sub_f32_e32 v74, v53, v55
	v_mul_f32_e32 v55, v62, v67
	v_fmac_f32_e32 v55, v32, v66
	v_sub_f32_e32 v32, v43, v55
	v_add_co_u32_e32 v55, vcc, s6, v81
	v_mul_f32_e32 v28, v28, v65
	v_addc_co_u32_e32 v56, vcc, 0, v82, vcc
	global_load_dwordx4 v[55:58], v[55:56], off offset:2768
	v_fma_f32 v6, v64, v6, -v28
	v_add_co_u32_e32 v64, vcc, s1, v81
	v_addc_co_u32_e32 v65, vcc, 0, v82, vcc
	global_load_dwordx2 v[64:65], v[64:65], off offset:16
	v_mul_f32_e32 v28, v30, v77
	v_fma_f32 v28, v76, v71, -v28
	v_sub_f32_e32 v36, v44, v36
	v_sub_f32_e32 v28, v6, v28
	v_fma_f32 v30, v44, 2.0, -v36
	v_fma_f32 v6, v6, 2.0, -v28
	v_sub_f32_e32 v44, v30, v6
	v_fma_f32 v67, v30, 2.0, -v44
	v_add_u32_e32 v30, v40, v79
	ds_read_b32 v30, v30
	v_add_f32_e32 v62, v32, v28
	v_fma_f32 v6, v43, 2.0, -v32
	v_fma_f32 v28, v53, 2.0, -v74
	v_sub_f32_e32 v43, v6, v28
	v_sub_f32_e32 v63, v36, v74
	v_fma_f32 v66, v6, 2.0, -v43
	v_fma_f32 v72, v36, 2.0, -v63
	;; [unrolled: 1-line block ×3, first 2 shown]
	s_waitcnt vmcnt(5)
	v_mul_f32_e32 v6, v31, v48
	v_fma_f32 v6, v47, v61, -v6
	v_mul_f32_e32 v36, v46, v5
	s_waitcnt lgkmcnt(0)
	v_sub_f32_e32 v32, v30, v6
	v_fmac_f32_e32 v36, v27, v45
	v_mul_f32_e32 v27, v27, v46
	v_mul_f32_e32 v48, v61, v48
	v_fma_f32 v45, v45, v5, -v27
	s_waitcnt vmcnt(4)
	v_mul_f32_e32 v6, v60, v70
	v_fmac_f32_e32 v6, v29, v59
	v_mul_f32_e32 v5, v29, v60
	v_sub_f32_e32 v40, v36, v6
	v_fmac_f32_e32 v48, v31, v47
	v_fma_f32 v5, v59, v70, -v5
	v_sub_f32_e32 v6, v32, v40
	v_sub_f32_e32 v31, v42, v48
	;; [unrolled: 1-line block ×3, first 2 shown]
	v_fma_f32 v28, v32, 2.0, -v6
	v_add_f32_e32 v5, v31, v29
	v_fma_f32 v32, v30, 2.0, -v32
	v_fma_f32 v29, v45, 2.0, -v29
	v_sub_f32_e32 v30, v32, v29
	v_fma_f32 v29, v36, 2.0, -v40
	ds_read2_b32 v[35:36], v35 offset0:64 offset1:208
	ds_read_b32 v0, v0
	ds_read2_b32 v[45:46], v33 offset0:96 offset1:240
	ds_read2_b32 v[33:34], v34 offset0:32 offset1:176
	v_fma_f32 v27, v31, 2.0, -v5
	v_fma_f32 v31, v42, 2.0, -v31
	s_mov_b32 s1, 0x97b425f
	v_sub_f32_e32 v29, v31, v29
	v_fma_f32 v32, v32, 2.0, -v30
	v_fma_f32 v31, v31, 2.0, -v29
	;; [unrolled: 1-line block ×3, first 2 shown]
	s_waitcnt vmcnt(3) lgkmcnt(1)
	v_mul_f32_e32 v48, v50, v46
	v_mul_f32_e32 v40, v20, v52
	v_fmac_f32_e32 v48, v16, v49
	v_mul_f32_e32 v16, v16, v50
	v_fma_f32 v40, v51, v36, -v40
	v_fma_f32 v16, v49, v46, -v16
	v_sub_f32_e32 v40, v0, v40
	v_mul_f32_e32 v36, v36, v52
	v_fmac_f32_e32 v36, v20, v51
	v_fma_f32 v0, v0, 2.0, -v40
	v_sub_f32_e32 v20, v41, v36
	s_waitcnt vmcnt(2) lgkmcnt(0)
	v_mul_f32_e32 v42, v38, v34
	v_fmac_f32_e32 v42, v18, v37
	v_mul_f32_e32 v18, v18, v38
	v_fma_f32 v18, v37, v34, -v18
	v_sub_f32_e32 v18, v16, v18
	v_fma_f32 v16, v16, 2.0, -v18
	v_sub_f32_e32 v59, v48, v42
	v_sub_f32_e32 v37, v0, v16
	v_add_f32_e32 v46, v20, v18
	v_fma_f32 v42, v0, 2.0, -v37
	v_fma_f32 v0, v41, 2.0, -v20
	;; [unrolled: 1-line block ×3, first 2 shown]
	s_waitcnt vmcnt(1)
	v_mul_f32_e32 v48, v56, v45
	v_fma_f32 v52, v20, 2.0, -v46
	v_sub_f32_e32 v36, v0, v16
	v_fmac_f32_e32 v48, v15, v55
	v_mul_f32_e32 v20, v35, v58
	v_mul_f32_e32 v15, v15, v56
	s_waitcnt vmcnt(0)
	v_mul_f32_e32 v16, v65, v33
	v_fma_f32 v41, v0, 2.0, -v36
	v_mul_f32_e32 v0, v19, v58
	v_fmac_f32_e32 v16, v17, v64
	v_fmac_f32_e32 v20, v19, v57
	v_fma_f32 v19, v55, v45, -v15
	v_mul_f32_e32 v15, v17, v65
	v_lshrrev_b32_e32 v17, 5, v54
	v_fma_f32 v15, v64, v33, -v15
	v_mul_hi_u32 v33, v17, s1
	v_fma_f32 v0, v57, v35, -v0
	v_sub_f32_e32 v35, v39, v20
	v_sub_f32_e32 v20, v19, v15
	v_fma_f32 v34, v19, 2.0, -v20
	v_mul_u32_u24_e32 v19, 0x360, v33
	v_sub_u32_e32 v45, v54, v19
	v_sub_f32_e32 v0, v73, v0
	v_sub_f32_e32 v49, v48, v16
	v_add_f32_e32 v15, v35, v20
	v_mad_u64_u32 v[19:20], s[4:5], s2, v45, 0
	v_sub_f32_e32 v16, v0, v49
	v_fma_f32 v18, v0, 2.0, -v16
	v_fma_f32 v0, v73, 2.0, -v0
	v_sub_f32_e32 v47, v40, v59
	v_sub_f32_e32 v34, v0, v34
	v_fma_f32 v53, v40, 2.0, -v47
	v_fma_f32 v40, v0, 2.0, -v34
	v_mov_b32_e32 v0, v20
	v_fma_f32 v17, v35, 2.0, -v15
	v_fma_f32 v35, v39, 2.0, -v35
	v_mad_u64_u32 v[38:39], s[4:5], s3, v45, v[0:1]
	v_fma_f32 v0, v48, 2.0, -v49
	v_lshlrev_b64 v[48:49], 3, v[68:69]
	v_sub_f32_e32 v33, v35, v0
	v_fma_f32 v39, v35, 2.0, -v33
	v_mov_b32_e32 v0, s11
	v_add_co_u32_e32 v35, vcc, s10, v48
	v_mov_b32_e32 v20, v38
	v_addc_co_u32_e32 v38, vcc, v0, v49, vcc
	v_lshlrev_b64 v[0:1], 3, v[1:2]
	v_add_u32_e32 v48, 0x360, v45
	v_add_co_u32_e32 v35, vcc, v35, v0
	v_addc_co_u32_e32 v38, vcc, v38, v1, vcc
	v_lshlrev_b64 v[0:1], 3, v[19:20]
	v_mad_u64_u32 v[19:20], s[4:5], s2, v48, 0
	v_add_u32_e32 v51, 0x6c0, v45
	v_add_co_u32_e32 v0, vcc, v35, v0
	v_mov_b32_e32 v2, v20
	v_mad_u64_u32 v[48:49], s[4:5], s3, v48, v[2:3]
	v_mad_u64_u32 v[49:50], s[4:5], s2, v51, 0
	v_addc_co_u32_e32 v1, vcc, v38, v1, vcc
	v_mov_b32_e32 v20, v48
	v_mov_b32_e32 v2, v50
	global_store_dwordx2 v[0:1], v[39:40], off
	v_lshlrev_b64 v[0:1], 3, v[19:20]
	v_mad_u64_u32 v[19:20], s[4:5], s3, v51, v[2:3]
	v_add_co_u32_e32 v0, vcc, v35, v0
	v_addc_co_u32_e32 v1, vcc, v38, v1, vcc
	v_mov_b32_e32 v50, v19
	v_add_u32_e32 v19, 0xa20, v45
	v_add_u32_e32 v20, 0x90, v54
	global_store_dwordx2 v[0:1], v[17:18], off
	v_mad_u64_u32 v[17:18], s[4:5], s2, v19, 0
	v_lshrrev_b32_e32 v2, 5, v20
	v_mul_hi_u32 v39, v2, s1
	v_mov_b32_e32 v2, v18
	v_mad_u64_u32 v[18:19], s[4:5], s3, v19, v[2:3]
	v_mul_u32_u24_e32 v2, 0x360, v39
	v_sub_u32_e32 v2, v20, v2
	v_mad_u32_u24 v39, v39, s0, v2
	v_mad_u64_u32 v[19:20], s[4:5], s2, v39, 0
	v_lshlrev_b64 v[0:1], 3, v[49:50]
	v_add_co_u32_e32 v0, vcc, v35, v0
	v_addc_co_u32_e32 v1, vcc, v38, v1, vcc
	v_mov_b32_e32 v2, v20
	global_store_dwordx2 v[0:1], v[33:34], off
	v_lshlrev_b64 v[0:1], 3, v[17:18]
	v_mad_u64_u32 v[17:18], s[4:5], s3, v39, v[2:3]
	v_add_co_u32_e32 v0, vcc, v35, v0
	v_addc_co_u32_e32 v1, vcc, v38, v1, vcc
	v_mov_b32_e32 v20, v17
	v_add_u32_e32 v17, 0x360, v39
	global_store_dwordx2 v[0:1], v[15:16], off
	v_mad_u64_u32 v[15:16], s[4:5], s2, v17, 0
	v_lshlrev_b64 v[0:1], 3, v[19:20]
	v_add_u32_e32 v19, 0x6c0, v39
	v_mov_b32_e32 v2, v16
	v_mad_u64_u32 v[16:17], s[4:5], s3, v17, v[2:3]
	v_mad_u64_u32 v[17:18], s[4:5], s2, v19, 0
	v_add_co_u32_e32 v0, vcc, v35, v0
	v_addc_co_u32_e32 v1, vcc, v38, v1, vcc
	v_mov_b32_e32 v2, v18
	global_store_dwordx2 v[0:1], v[41:42], off
	v_lshlrev_b64 v[0:1], 3, v[15:16]
	v_mad_u64_u32 v[15:16], s[4:5], s3, v19, v[2:3]
	v_add_co_u32_e32 v0, vcc, v35, v0
	v_addc_co_u32_e32 v1, vcc, v38, v1, vcc
	v_mov_b32_e32 v18, v15
	global_store_dwordx2 v[0:1], v[52:53], off
	v_lshlrev_b64 v[0:1], 3, v[17:18]
	v_add_u32_e32 v17, 0xa20, v39
	v_add_u32_e32 v18, 0x120, v54
	v_mad_u64_u32 v[15:16], s[4:5], s2, v17, 0
	v_lshrrev_b32_e32 v2, 5, v18
	v_mul_hi_u32 v19, v2, s1
	v_mov_b32_e32 v2, v16
	v_mad_u64_u32 v[16:17], s[4:5], s3, v17, v[2:3]
	v_mul_u32_u24_e32 v2, 0x360, v19
	v_sub_u32_e32 v2, v18, v2
	v_mad_u32_u24 v19, v19, s0, v2
	v_mad_u64_u32 v[17:18], s[4:5], s2, v19, 0
	v_add_co_u32_e32 v0, vcc, v35, v0
	v_addc_co_u32_e32 v1, vcc, v38, v1, vcc
	v_mov_b32_e32 v2, v18
	global_store_dwordx2 v[0:1], v[36:37], off
	v_lshlrev_b64 v[0:1], 3, v[15:16]
	v_mad_u64_u32 v[15:16], s[4:5], s3, v19, v[2:3]
	v_add_co_u32_e32 v0, vcc, v35, v0
	v_addc_co_u32_e32 v1, vcc, v38, v1, vcc
	v_mov_b32_e32 v18, v15
	global_store_dwordx2 v[0:1], v[46:47], off
	v_lshlrev_b64 v[0:1], 3, v[17:18]
	v_add_u32_e32 v17, 0x360, v19
	v_mad_u64_u32 v[15:16], s[4:5], s2, v17, 0
	v_add_u32_e32 v20, 0x6c0, v19
	v_add_co_u32_e32 v0, vcc, v35, v0
	v_mov_b32_e32 v2, v16
	v_mad_u64_u32 v[16:17], s[4:5], s3, v17, v[2:3]
	v_mad_u64_u32 v[17:18], s[4:5], s2, v20, 0
	v_addc_co_u32_e32 v1, vcc, v38, v1, vcc
	v_mov_b32_e32 v2, v18
	global_store_dwordx2 v[0:1], v[31:32], off
	v_lshlrev_b64 v[0:1], 3, v[15:16]
	v_mad_u64_u32 v[15:16], s[4:5], s3, v20, v[2:3]
	v_add_co_u32_e32 v0, vcc, v35, v0
	v_addc_co_u32_e32 v1, vcc, v38, v1, vcc
	v_mov_b32_e32 v18, v15
	global_store_dwordx2 v[0:1], v[27:28], off
	v_lshlrev_b64 v[0:1], 3, v[17:18]
	v_add_u32_e32 v17, 0xa20, v19
	v_add_u32_e32 v18, 0x1b0, v54
	v_mad_u64_u32 v[15:16], s[4:5], s2, v17, 0
	v_lshrrev_b32_e32 v2, 5, v18
	v_mul_hi_u32 v19, v2, s1
	v_mov_b32_e32 v2, v16
	v_mad_u64_u32 v[16:17], s[4:5], s3, v17, v[2:3]
	v_mul_u32_u24_e32 v2, 0x360, v19
	v_sub_u32_e32 v2, v18, v2
	v_mad_u32_u24 v19, v19, s0, v2
	v_mad_u64_u32 v[17:18], s[4:5], s2, v19, 0
	v_add_co_u32_e32 v0, vcc, v35, v0
	v_addc_co_u32_e32 v1, vcc, v38, v1, vcc
	v_mov_b32_e32 v2, v18
	global_store_dwordx2 v[0:1], v[29:30], off
	v_lshlrev_b64 v[0:1], 3, v[15:16]
	v_mad_u64_u32 v[15:16], s[4:5], s3, v19, v[2:3]
	v_add_co_u32_e32 v0, vcc, v35, v0
	v_addc_co_u32_e32 v1, vcc, v38, v1, vcc
	v_mov_b32_e32 v18, v15
	v_add_u32_e32 v15, 0x360, v19
	global_store_dwordx2 v[0:1], v[5:6], off
	v_mad_u64_u32 v[5:6], s[4:5], s2, v15, 0
	v_lshlrev_b64 v[0:1], 3, v[17:18]
	v_add_u32_e32 v18, 0x6c0, v19
	v_mov_b32_e32 v2, v6
	v_mad_u64_u32 v[15:16], s[4:5], s3, v15, v[2:3]
	v_mad_u64_u32 v[16:17], s[4:5], s2, v18, 0
	v_add_co_u32_e32 v0, vcc, v35, v0
	v_addc_co_u32_e32 v1, vcc, v38, v1, vcc
	v_mov_b32_e32 v6, v15
	v_mov_b32_e32 v2, v17
	global_store_dwordx2 v[0:1], v[66:67], off
	v_lshlrev_b64 v[0:1], 3, v[5:6]
	v_mad_u64_u32 v[5:6], s[4:5], s3, v18, v[2:3]
	v_add_co_u32_e32 v0, vcc, v35, v0
	v_addc_co_u32_e32 v1, vcc, v38, v1, vcc
	v_mov_b32_e32 v17, v5
	global_store_dwordx2 v[0:1], v[71:72], off
	v_lshlrev_b64 v[0:1], 3, v[16:17]
	v_add_u32_e32 v15, 0xa20, v19
	v_add_u32_e32 v17, 0x240, v54
	v_mad_u64_u32 v[5:6], s[4:5], s2, v15, 0
	v_lshrrev_b32_e32 v2, 5, v17
	v_mul_hi_u32 v18, v2, s1
	v_mov_b32_e32 v2, v6
	v_mad_u64_u32 v[15:16], s[4:5], s3, v15, v[2:3]
	v_mul_u32_u24_e32 v2, 0x360, v18
	v_sub_u32_e32 v2, v17, v2
	v_mad_u32_u24 v18, v18, s0, v2
	v_mad_u64_u32 v[16:17], s[4:5], s2, v18, 0
	v_add_co_u32_e32 v0, vcc, v35, v0
	v_addc_co_u32_e32 v1, vcc, v38, v1, vcc
	v_mov_b32_e32 v6, v15
	v_mov_b32_e32 v2, v17
	global_store_dwordx2 v[0:1], v[43:44], off
	v_lshlrev_b64 v[0:1], 3, v[5:6]
	v_mad_u64_u32 v[5:6], s[4:5], s3, v18, v[2:3]
	v_add_u32_e32 v15, 0x360, v18
	v_add_co_u32_e32 v0, vcc, v35, v0
	v_mov_b32_e32 v17, v5
	v_mad_u64_u32 v[5:6], s[4:5], s2, v15, 0
	v_addc_co_u32_e32 v1, vcc, v38, v1, vcc
	v_mov_b32_e32 v2, v6
	global_store_dwordx2 v[0:1], v[62:63], off
	v_lshlrev_b64 v[0:1], 3, v[16:17]
	v_mad_u64_u32 v[15:16], s[4:5], s3, v15, v[2:3]
	v_add_u32_e32 v19, 0x6c0, v18
	v_mad_u64_u32 v[16:17], s[4:5], s2, v19, 0
	v_add_co_u32_e32 v0, vcc, v35, v0
	v_addc_co_u32_e32 v1, vcc, v38, v1, vcc
	v_mov_b32_e32 v6, v15
	v_mov_b32_e32 v2, v17
	global_store_dwordx2 v[0:1], v[25:26], off
	v_lshlrev_b64 v[0:1], 3, v[5:6]
	v_mad_u64_u32 v[5:6], s[4:5], s3, v19, v[2:3]
	v_add_u32_e32 v15, 0xa20, v18
	v_add_co_u32_e32 v0, vcc, v35, v0
	v_mov_b32_e32 v17, v5
	v_mad_u64_u32 v[5:6], s[4:5], s2, v15, 0
	v_addc_co_u32_e32 v1, vcc, v38, v1, vcc
	v_mov_b32_e32 v2, v6
	global_store_dwordx2 v[0:1], v[23:24], off
	v_lshlrev_b64 v[0:1], 3, v[16:17]
	v_mad_u64_u32 v[15:16], s[4:5], s3, v15, v[2:3]
	v_add_u32_e32 v2, 0x2d0, v54
	v_lshrrev_b32_e32 v6, 5, v2
	v_mul_hi_u32 v16, v6, s1
	v_add_co_u32_e32 v0, vcc, v35, v0
	v_addc_co_u32_e32 v1, vcc, v38, v1, vcc
	v_mov_b32_e32 v6, v15
	global_store_dwordx2 v[0:1], v[21:22], off
	v_lshlrev_b64 v[0:1], 3, v[5:6]
	v_mul_u32_u24_e32 v5, 0x360, v16
	v_sub_u32_e32 v2, v2, v5
	v_mad_u32_u24 v18, v16, s0, v2
	v_mad_u64_u32 v[5:6], s[0:1], s2, v18, 0
	v_add_u32_e32 v19, 0x360, v18
	v_add_co_u32_e32 v0, vcc, v35, v0
	v_mov_b32_e32 v2, v6
	v_mad_u64_u32 v[15:16], s[0:1], s3, v18, v[2:3]
	v_mad_u64_u32 v[16:17], s[0:1], s2, v19, 0
	v_addc_co_u32_e32 v1, vcc, v38, v1, vcc
	v_mov_b32_e32 v6, v15
	global_store_dwordx2 v[0:1], v[13:14], off
	v_lshlrev_b64 v[0:1], 3, v[5:6]
	v_mov_b32_e32 v2, v17
	v_mad_u64_u32 v[5:6], s[0:1], s3, v19, v[2:3]
	v_add_co_u32_e32 v0, vcc, v35, v0
	v_addc_co_u32_e32 v1, vcc, v38, v1, vcc
	global_store_dwordx2 v[0:1], v[11:12], off
	v_add_u32_e32 v11, 0x6c0, v18
	v_mov_b32_e32 v17, v5
	v_mad_u64_u32 v[5:6], s[0:1], s2, v11, 0
	v_add_u32_e32 v14, 0xa20, v18
	v_lshlrev_b64 v[0:1], 3, v[16:17]
	v_mov_b32_e32 v2, v6
	v_mad_u64_u32 v[11:12], s[0:1], s3, v11, v[2:3]
	v_mad_u64_u32 v[12:13], s[0:1], s2, v14, 0
	v_add_co_u32_e32 v0, vcc, v35, v0
	v_addc_co_u32_e32 v1, vcc, v38, v1, vcc
	v_mov_b32_e32 v6, v11
	v_mov_b32_e32 v2, v13
	global_store_dwordx2 v[0:1], v[9:10], off
	v_lshlrev_b64 v[0:1], 3, v[5:6]
	v_mad_u64_u32 v[5:6], s[0:1], s3, v14, v[2:3]
	v_add_co_u32_e32 v0, vcc, v35, v0
	v_addc_co_u32_e32 v1, vcc, v38, v1, vcc
	v_mov_b32_e32 v13, v5
	global_store_dwordx2 v[0:1], v[7:8], off
	v_lshlrev_b64 v[0:1], 3, v[12:13]
	v_add_co_u32_e32 v0, vcc, v35, v0
	v_addc_co_u32_e32 v1, vcc, v38, v1, vcc
	global_store_dwordx2 v[0:1], v[3:4], off
.LBB0_15:
	s_endpgm
	.section	.rodata,"a",@progbits
	.p2align	6, 0x0
	.amdhsa_kernel fft_rtc_back_len3456_factors_6_6_6_4_4_wgs_144_tpt_144_halfLds_sp_op_CI_CI_sbrr_dirReg
		.amdhsa_group_segment_fixed_size 0
		.amdhsa_private_segment_fixed_size 0
		.amdhsa_kernarg_size 104
		.amdhsa_user_sgpr_count 6
		.amdhsa_user_sgpr_private_segment_buffer 1
		.amdhsa_user_sgpr_dispatch_ptr 0
		.amdhsa_user_sgpr_queue_ptr 0
		.amdhsa_user_sgpr_kernarg_segment_ptr 1
		.amdhsa_user_sgpr_dispatch_id 0
		.amdhsa_user_sgpr_flat_scratch_init 0
		.amdhsa_user_sgpr_private_segment_size 0
		.amdhsa_uses_dynamic_stack 0
		.amdhsa_system_sgpr_private_segment_wavefront_offset 0
		.amdhsa_system_sgpr_workgroup_id_x 1
		.amdhsa_system_sgpr_workgroup_id_y 0
		.amdhsa_system_sgpr_workgroup_id_z 0
		.amdhsa_system_sgpr_workgroup_info 0
		.amdhsa_system_vgpr_workitem_id 0
		.amdhsa_next_free_vgpr 110
		.amdhsa_next_free_sgpr 32
		.amdhsa_reserve_vcc 1
		.amdhsa_reserve_flat_scratch 0
		.amdhsa_float_round_mode_32 0
		.amdhsa_float_round_mode_16_64 0
		.amdhsa_float_denorm_mode_32 3
		.amdhsa_float_denorm_mode_16_64 3
		.amdhsa_dx10_clamp 1
		.amdhsa_ieee_mode 1
		.amdhsa_fp16_overflow 0
		.amdhsa_exception_fp_ieee_invalid_op 0
		.amdhsa_exception_fp_denorm_src 0
		.amdhsa_exception_fp_ieee_div_zero 0
		.amdhsa_exception_fp_ieee_overflow 0
		.amdhsa_exception_fp_ieee_underflow 0
		.amdhsa_exception_fp_ieee_inexact 0
		.amdhsa_exception_int_div_zero 0
	.end_amdhsa_kernel
	.text
.Lfunc_end0:
	.size	fft_rtc_back_len3456_factors_6_6_6_4_4_wgs_144_tpt_144_halfLds_sp_op_CI_CI_sbrr_dirReg, .Lfunc_end0-fft_rtc_back_len3456_factors_6_6_6_4_4_wgs_144_tpt_144_halfLds_sp_op_CI_CI_sbrr_dirReg
                                        ; -- End function
	.section	.AMDGPU.csdata,"",@progbits
; Kernel info:
; codeLenInByte = 13928
; NumSgprs: 36
; NumVgprs: 110
; ScratchSize: 0
; MemoryBound: 0
; FloatMode: 240
; IeeeMode: 1
; LDSByteSize: 0 bytes/workgroup (compile time only)
; SGPRBlocks: 4
; VGPRBlocks: 27
; NumSGPRsForWavesPerEU: 36
; NumVGPRsForWavesPerEU: 110
; Occupancy: 2
; WaveLimiterHint : 1
; COMPUTE_PGM_RSRC2:SCRATCH_EN: 0
; COMPUTE_PGM_RSRC2:USER_SGPR: 6
; COMPUTE_PGM_RSRC2:TRAP_HANDLER: 0
; COMPUTE_PGM_RSRC2:TGID_X_EN: 1
; COMPUTE_PGM_RSRC2:TGID_Y_EN: 0
; COMPUTE_PGM_RSRC2:TGID_Z_EN: 0
; COMPUTE_PGM_RSRC2:TIDIG_COMP_CNT: 0
	.type	__hip_cuid_db2ca1c735725c95,@object ; @__hip_cuid_db2ca1c735725c95
	.section	.bss,"aw",@nobits
	.globl	__hip_cuid_db2ca1c735725c95
__hip_cuid_db2ca1c735725c95:
	.byte	0                               ; 0x0
	.size	__hip_cuid_db2ca1c735725c95, 1

	.ident	"AMD clang version 19.0.0git (https://github.com/RadeonOpenCompute/llvm-project roc-6.4.0 25133 c7fe45cf4b819c5991fe208aaa96edf142730f1d)"
	.section	".note.GNU-stack","",@progbits
	.addrsig
	.addrsig_sym __hip_cuid_db2ca1c735725c95
	.amdgpu_metadata
---
amdhsa.kernels:
  - .args:
      - .actual_access:  read_only
        .address_space:  global
        .offset:         0
        .size:           8
        .value_kind:     global_buffer
      - .offset:         8
        .size:           8
        .value_kind:     by_value
      - .actual_access:  read_only
        .address_space:  global
        .offset:         16
        .size:           8
        .value_kind:     global_buffer
      - .actual_access:  read_only
        .address_space:  global
        .offset:         24
        .size:           8
        .value_kind:     global_buffer
      - .actual_access:  read_only
        .address_space:  global
        .offset:         32
        .size:           8
        .value_kind:     global_buffer
      - .offset:         40
        .size:           8
        .value_kind:     by_value
      - .actual_access:  read_only
        .address_space:  global
        .offset:         48
        .size:           8
        .value_kind:     global_buffer
      - .actual_access:  read_only
        .address_space:  global
        .offset:         56
        .size:           8
        .value_kind:     global_buffer
      - .offset:         64
        .size:           4
        .value_kind:     by_value
      - .actual_access:  read_only
        .address_space:  global
        .offset:         72
        .size:           8
        .value_kind:     global_buffer
      - .actual_access:  read_only
        .address_space:  global
        .offset:         80
        .size:           8
        .value_kind:     global_buffer
      - .actual_access:  read_only
        .address_space:  global
        .offset:         88
        .size:           8
        .value_kind:     global_buffer
      - .actual_access:  write_only
        .address_space:  global
        .offset:         96
        .size:           8
        .value_kind:     global_buffer
    .group_segment_fixed_size: 0
    .kernarg_segment_align: 8
    .kernarg_segment_size: 104
    .language:       OpenCL C
    .language_version:
      - 2
      - 0
    .max_flat_workgroup_size: 144
    .name:           fft_rtc_back_len3456_factors_6_6_6_4_4_wgs_144_tpt_144_halfLds_sp_op_CI_CI_sbrr_dirReg
    .private_segment_fixed_size: 0
    .sgpr_count:     36
    .sgpr_spill_count: 0
    .symbol:         fft_rtc_back_len3456_factors_6_6_6_4_4_wgs_144_tpt_144_halfLds_sp_op_CI_CI_sbrr_dirReg.kd
    .uniform_work_group_size: 1
    .uses_dynamic_stack: false
    .vgpr_count:     110
    .vgpr_spill_count: 0
    .wavefront_size: 64
amdhsa.target:   amdgcn-amd-amdhsa--gfx906
amdhsa.version:
  - 1
  - 2
...

	.end_amdgpu_metadata
